;; amdgpu-corpus repo=ROCm/rocFFT kind=compiled arch=gfx906 opt=O3
	.text
	.amdgcn_target "amdgcn-amd-amdhsa--gfx906"
	.amdhsa_code_object_version 6
	.protected	fft_rtc_fwd_len1701_factors_3_3_3_3_3_7_wgs_63_tpt_63_halfLds_dp_op_CI_CI_sbrr_dirReg ; -- Begin function fft_rtc_fwd_len1701_factors_3_3_3_3_3_7_wgs_63_tpt_63_halfLds_dp_op_CI_CI_sbrr_dirReg
	.globl	fft_rtc_fwd_len1701_factors_3_3_3_3_3_7_wgs_63_tpt_63_halfLds_dp_op_CI_CI_sbrr_dirReg
	.p2align	8
	.type	fft_rtc_fwd_len1701_factors_3_3_3_3_3_7_wgs_63_tpt_63_halfLds_dp_op_CI_CI_sbrr_dirReg,@function
fft_rtc_fwd_len1701_factors_3_3_3_3_3_7_wgs_63_tpt_63_halfLds_dp_op_CI_CI_sbrr_dirReg: ; @fft_rtc_fwd_len1701_factors_3_3_3_3_3_7_wgs_63_tpt_63_halfLds_dp_op_CI_CI_sbrr_dirReg
; %bb.0:
	s_load_dwordx4 s[16:19], s[4:5], 0x18
	s_load_dwordx4 s[8:11], s[4:5], 0x0
	;; [unrolled: 1-line block ×3, first 2 shown]
	v_mul_u32_u24_e32 v1, 0x411, v0
	v_add_u32_sdwa v6, s6, v1 dst_sel:DWORD dst_unused:UNUSED_PAD src0_sel:DWORD src1_sel:WORD_1
	s_waitcnt lgkmcnt(0)
	s_load_dwordx2 s[20:21], s[16:17], 0x0
	s_load_dwordx2 s[2:3], s[18:19], 0x0
	v_cmp_lt_u64_e64 s[0:1], s[10:11], 2
	v_mov_b32_e32 v1, 0
	v_mov_b32_e32 v4, 0
	;; [unrolled: 1-line block ×3, first 2 shown]
	s_and_b64 vcc, exec, s[0:1]
	v_mov_b32_e32 v5, 0
	s_cbranch_vccnz .LBB0_8
; %bb.1:
	s_load_dwordx2 s[0:1], s[4:5], 0x10
	s_add_u32 s6, s18, 8
	s_addc_u32 s7, s19, 0
	s_add_u32 s22, s16, 8
	v_mov_b32_e32 v4, 0
	s_addc_u32 s23, s17, 0
	v_mov_b32_e32 v5, 0
	s_waitcnt lgkmcnt(0)
	s_add_u32 s24, s0, 8
	v_mov_b32_e32 v113, v5
	s_addc_u32 s25, s1, 0
	s_mov_b64 s[26:27], 1
	v_mov_b32_e32 v112, v4
.LBB0_2:                                ; =>This Inner Loop Header: Depth=1
	s_load_dwordx2 s[28:29], s[24:25], 0x0
                                        ; implicit-def: $vgpr114_vgpr115
	s_waitcnt lgkmcnt(0)
	v_or_b32_e32 v2, s29, v7
	v_cmp_ne_u64_e32 vcc, 0, v[1:2]
	s_and_saveexec_b64 s[0:1], vcc
	s_xor_b64 s[30:31], exec, s[0:1]
	s_cbranch_execz .LBB0_4
; %bb.3:                                ;   in Loop: Header=BB0_2 Depth=1
	v_cvt_f32_u32_e32 v2, s28
	v_cvt_f32_u32_e32 v3, s29
	s_sub_u32 s0, 0, s28
	s_subb_u32 s1, 0, s29
	v_mac_f32_e32 v2, 0x4f800000, v3
	v_rcp_f32_e32 v2, v2
	v_mul_f32_e32 v2, 0x5f7ffffc, v2
	v_mul_f32_e32 v3, 0x2f800000, v2
	v_trunc_f32_e32 v3, v3
	v_mac_f32_e32 v2, 0xcf800000, v3
	v_cvt_u32_f32_e32 v3, v3
	v_cvt_u32_f32_e32 v2, v2
	v_mul_lo_u32 v8, s0, v3
	v_mul_hi_u32 v9, s0, v2
	v_mul_lo_u32 v11, s1, v2
	v_mul_lo_u32 v10, s0, v2
	v_add_u32_e32 v8, v9, v8
	v_add_u32_e32 v8, v8, v11
	v_mul_hi_u32 v9, v2, v10
	v_mul_lo_u32 v11, v2, v8
	v_mul_hi_u32 v13, v2, v8
	v_mul_hi_u32 v12, v3, v10
	v_mul_lo_u32 v10, v3, v10
	v_mul_hi_u32 v14, v3, v8
	v_add_co_u32_e32 v9, vcc, v9, v11
	v_addc_co_u32_e32 v11, vcc, 0, v13, vcc
	v_mul_lo_u32 v8, v3, v8
	v_add_co_u32_e32 v9, vcc, v9, v10
	v_addc_co_u32_e32 v9, vcc, v11, v12, vcc
	v_addc_co_u32_e32 v10, vcc, 0, v14, vcc
	v_add_co_u32_e32 v8, vcc, v9, v8
	v_addc_co_u32_e32 v9, vcc, 0, v10, vcc
	v_add_co_u32_e32 v2, vcc, v2, v8
	v_addc_co_u32_e32 v3, vcc, v3, v9, vcc
	v_mul_lo_u32 v8, s0, v3
	v_mul_hi_u32 v9, s0, v2
	v_mul_lo_u32 v10, s1, v2
	v_mul_lo_u32 v11, s0, v2
	v_add_u32_e32 v8, v9, v8
	v_add_u32_e32 v8, v8, v10
	v_mul_lo_u32 v12, v2, v8
	v_mul_hi_u32 v13, v2, v11
	v_mul_hi_u32 v14, v2, v8
	;; [unrolled: 1-line block ×3, first 2 shown]
	v_mul_lo_u32 v11, v3, v11
	v_mul_hi_u32 v9, v3, v8
	v_add_co_u32_e32 v12, vcc, v13, v12
	v_addc_co_u32_e32 v13, vcc, 0, v14, vcc
	v_mul_lo_u32 v8, v3, v8
	v_add_co_u32_e32 v11, vcc, v12, v11
	v_addc_co_u32_e32 v10, vcc, v13, v10, vcc
	v_addc_co_u32_e32 v9, vcc, 0, v9, vcc
	v_add_co_u32_e32 v8, vcc, v10, v8
	v_addc_co_u32_e32 v9, vcc, 0, v9, vcc
	v_add_co_u32_e32 v8, vcc, v2, v8
	v_addc_co_u32_e32 v9, vcc, v3, v9, vcc
	v_mad_u64_u32 v[2:3], s[0:1], v6, v9, 0
	v_mul_hi_u32 v10, v6, v8
	v_add_co_u32_e32 v10, vcc, v10, v2
	v_addc_co_u32_e32 v11, vcc, 0, v3, vcc
	v_mad_u64_u32 v[2:3], s[0:1], v7, v8, 0
	v_mad_u64_u32 v[8:9], s[0:1], v7, v9, 0
	v_add_co_u32_e32 v2, vcc, v10, v2
	v_addc_co_u32_e32 v2, vcc, v11, v3, vcc
	v_addc_co_u32_e32 v3, vcc, 0, v9, vcc
	v_add_co_u32_e32 v8, vcc, v2, v8
	v_addc_co_u32_e32 v9, vcc, 0, v3, vcc
	v_mul_lo_u32 v10, s29, v8
	v_mul_lo_u32 v11, s28, v9
	v_mad_u64_u32 v[2:3], s[0:1], s28, v8, 0
	v_add3_u32 v3, v3, v11, v10
	v_sub_u32_e32 v10, v7, v3
	v_mov_b32_e32 v11, s29
	v_sub_co_u32_e32 v2, vcc, v6, v2
	v_subb_co_u32_e64 v10, s[0:1], v10, v11, vcc
	v_subrev_co_u32_e64 v11, s[0:1], s28, v2
	v_subbrev_co_u32_e64 v10, s[0:1], 0, v10, s[0:1]
	v_cmp_le_u32_e64 s[0:1], s29, v10
	v_cndmask_b32_e64 v12, 0, -1, s[0:1]
	v_cmp_le_u32_e64 s[0:1], s28, v11
	v_cndmask_b32_e64 v11, 0, -1, s[0:1]
	v_cmp_eq_u32_e64 s[0:1], s29, v10
	v_cndmask_b32_e64 v10, v12, v11, s[0:1]
	v_add_co_u32_e64 v11, s[0:1], 2, v8
	v_addc_co_u32_e64 v12, s[0:1], 0, v9, s[0:1]
	v_add_co_u32_e64 v13, s[0:1], 1, v8
	v_addc_co_u32_e64 v14, s[0:1], 0, v9, s[0:1]
	v_subb_co_u32_e32 v3, vcc, v7, v3, vcc
	v_cmp_ne_u32_e64 s[0:1], 0, v10
	v_cmp_le_u32_e32 vcc, s29, v3
	v_cndmask_b32_e64 v10, v14, v12, s[0:1]
	v_cndmask_b32_e64 v12, 0, -1, vcc
	v_cmp_le_u32_e32 vcc, s28, v2
	v_cndmask_b32_e64 v2, 0, -1, vcc
	v_cmp_eq_u32_e32 vcc, s29, v3
	v_cndmask_b32_e32 v2, v12, v2, vcc
	v_cmp_ne_u32_e32 vcc, 0, v2
	v_cndmask_b32_e64 v2, v13, v11, s[0:1]
	v_cndmask_b32_e32 v115, v9, v10, vcc
	v_cndmask_b32_e32 v114, v8, v2, vcc
.LBB0_4:                                ;   in Loop: Header=BB0_2 Depth=1
	s_andn2_saveexec_b64 s[0:1], s[30:31]
	s_cbranch_execz .LBB0_6
; %bb.5:                                ;   in Loop: Header=BB0_2 Depth=1
	v_cvt_f32_u32_e32 v2, s28
	s_sub_i32 s30, 0, s28
	v_mov_b32_e32 v115, v1
	v_rcp_iflag_f32_e32 v2, v2
	v_mul_f32_e32 v2, 0x4f7ffffe, v2
	v_cvt_u32_f32_e32 v2, v2
	v_mul_lo_u32 v3, s30, v2
	v_mul_hi_u32 v3, v2, v3
	v_add_u32_e32 v2, v2, v3
	v_mul_hi_u32 v2, v6, v2
	v_mul_lo_u32 v3, v2, s28
	v_add_u32_e32 v8, 1, v2
	v_sub_u32_e32 v3, v6, v3
	v_subrev_u32_e32 v9, s28, v3
	v_cmp_le_u32_e32 vcc, s28, v3
	v_cndmask_b32_e32 v3, v3, v9, vcc
	v_cndmask_b32_e32 v2, v2, v8, vcc
	v_add_u32_e32 v8, 1, v2
	v_cmp_le_u32_e32 vcc, s28, v3
	v_cndmask_b32_e32 v114, v2, v8, vcc
.LBB0_6:                                ;   in Loop: Header=BB0_2 Depth=1
	s_or_b64 exec, exec, s[0:1]
	v_mul_lo_u32 v8, v115, s28
	v_mul_lo_u32 v9, v114, s29
	v_mad_u64_u32 v[2:3], s[0:1], v114, s28, 0
	s_load_dwordx2 s[0:1], s[22:23], 0x0
	s_load_dwordx2 s[28:29], s[6:7], 0x0
	v_add3_u32 v3, v3, v9, v8
	v_sub_co_u32_e32 v2, vcc, v6, v2
	v_subb_co_u32_e32 v3, vcc, v7, v3, vcc
	s_waitcnt lgkmcnt(0)
	v_mul_lo_u32 v6, s0, v3
	v_mul_lo_u32 v7, s1, v2
	v_mad_u64_u32 v[4:5], s[0:1], s0, v2, v[4:5]
	v_mul_lo_u32 v3, s28, v3
	v_mul_lo_u32 v8, s29, v2
	v_mad_u64_u32 v[112:113], s[0:1], s28, v2, v[112:113]
	s_add_u32 s26, s26, 1
	s_addc_u32 s27, s27, 0
	s_add_u32 s6, s6, 8
	v_add3_u32 v113, v8, v113, v3
	s_addc_u32 s7, s7, 0
	v_mov_b32_e32 v2, s10
	s_add_u32 s22, s22, 8
	v_mov_b32_e32 v3, s11
	s_addc_u32 s23, s23, 0
	v_cmp_ge_u64_e32 vcc, s[26:27], v[2:3]
	s_add_u32 s24, s24, 8
	v_add3_u32 v5, v7, v5, v6
	s_addc_u32 s25, s25, 0
	s_cbranch_vccnz .LBB0_9
; %bb.7:                                ;   in Loop: Header=BB0_2 Depth=1
	v_mov_b32_e32 v6, v114
	v_mov_b32_e32 v7, v115
	s_branch .LBB0_2
.LBB0_8:
	v_mov_b32_e32 v113, v5
	v_mov_b32_e32 v115, v7
	;; [unrolled: 1-line block ×4, first 2 shown]
.LBB0_9:
	s_load_dwordx2 s[0:1], s[4:5], 0x28
	s_lshl_b64 s[10:11], s[10:11], 3
	s_add_u32 s4, s18, s10
	s_addc_u32 s5, s19, s11
                                        ; implicit-def: $vgpr150
                                        ; implicit-def: $vgpr152
                                        ; implicit-def: $vgpr153
                                        ; implicit-def: $vgpr151
                                        ; implicit-def: $vgpr108
                                        ; implicit-def: $vgpr110
                                        ; implicit-def: $vgpr109
                                        ; implicit-def: $vgpr111
                                        ; implicit-def: $vgpr116
	s_waitcnt lgkmcnt(0)
	v_cmp_gt_u64_e32 vcc, s[0:1], v[114:115]
	v_cmp_le_u64_e64 s[0:1], s[0:1], v[114:115]
	s_and_saveexec_b64 s[6:7], s[0:1]
	s_xor_b64 s[0:1], exec, s[6:7]
	s_cbranch_execz .LBB0_11
; %bb.10:
	s_mov_b32 s6, 0x4104105
	v_mul_hi_u32 v1, v0, s6
                                        ; implicit-def: $vgpr4_vgpr5
	v_mul_u32_u24_e32 v1, 63, v1
	v_sub_u32_e32 v150, v0, v1
	v_add_u32_e32 v152, 63, v150
	v_add_u32_e32 v153, 0x7e, v150
	;; [unrolled: 1-line block ×8, first 2 shown]
                                        ; implicit-def: $vgpr0
.LBB0_11:
	s_or_saveexec_b64 s[6:7], s[0:1]
                                        ; implicit-def: $vgpr22_vgpr23
                                        ; implicit-def: $vgpr18_vgpr19
                                        ; implicit-def: $vgpr26_vgpr27
                                        ; implicit-def: $vgpr34_vgpr35
                                        ; implicit-def: $vgpr38_vgpr39
                                        ; implicit-def: $vgpr30_vgpr31
                                        ; implicit-def: $vgpr42_vgpr43
                                        ; implicit-def: $vgpr54_vgpr55
                                        ; implicit-def: $vgpr58_vgpr59
                                        ; implicit-def: $vgpr46_vgpr47
                                        ; implicit-def: $vgpr50_vgpr51
                                        ; implicit-def: $vgpr62_vgpr63
                                        ; implicit-def: $vgpr66_vgpr67
                                        ; implicit-def: $vgpr70_vgpr71
                                        ; implicit-def: $vgpr74_vgpr75
                                        ; implicit-def: $vgpr78_vgpr79
                                        ; implicit-def: $vgpr82_vgpr83
                                        ; implicit-def: $vgpr86_vgpr87
                                        ; implicit-def: $vgpr90_vgpr91
                                        ; implicit-def: $vgpr94_vgpr95
                                        ; implicit-def: $vgpr102_vgpr103
                                        ; implicit-def: $vgpr98_vgpr99
                                        ; implicit-def: $vgpr106_vgpr107
                                        ; implicit-def: $vgpr10_vgpr11
                                        ; implicit-def: $vgpr14_vgpr15
                                        ; implicit-def: $vgpr2_vgpr3
                                        ; implicit-def: $vgpr6_vgpr7
	s_xor_b64 exec, exec, s[6:7]
	s_cbranch_execz .LBB0_13
; %bb.12:
	s_add_u32 s0, s16, s10
	s_mov_b32 s10, 0x4104105
	s_addc_u32 s1, s17, s11
	v_mul_hi_u32 v1, v0, s10
	s_load_dwordx2 s[0:1], s[0:1], 0x0
	v_mul_u32_u24_e32 v1, 63, v1
	v_sub_u32_e32 v150, v0, v1
	s_waitcnt lgkmcnt(0)
	v_mul_lo_u32 v8, s1, v114
	v_mad_u64_u32 v[0:1], s[10:11], s20, v150, 0
	v_mul_lo_u32 v9, s0, v115
	v_mad_u64_u32 v[2:3], s[0:1], s0, v114, 0
	v_add_u32_e32 v152, 63, v150
	v_add_u32_e32 v27, 0x4ad, v150
	v_mad_u64_u32 v[6:7], s[0:1], s21, v150, v[1:2]
	v_add3_u32 v3, v3, v9, v8
	v_lshlrev_b64 v[2:3], 4, v[2:3]
	v_mov_b32_e32 v1, v6
	v_mov_b32_e32 v6, s13
	v_add_co_u32_e64 v7, s[0:1], s12, v2
	v_add_u32_e32 v8, 0x237, v150
	v_addc_co_u32_e64 v6, s[0:1], v6, v3, s[0:1]
	v_lshlrev_b64 v[2:3], 4, v[4:5]
	v_mad_u64_u32 v[4:5], s[0:1], s20, v8, 0
	v_add_co_u32_e64 v18, s[0:1], v7, v2
	v_mov_b32_e32 v2, v5
	v_addc_co_u32_e64 v19, s[0:1], v6, v3, s[0:1]
	v_mad_u64_u32 v[2:3], s[0:1], s21, v8, v[2:3]
	v_lshlrev_b64 v[0:1], 4, v[0:1]
	v_add_u32_e32 v153, 0x7e, v150
	v_add_co_u32_e64 v8, s[0:1], v18, v0
	v_mov_b32_e32 v5, v2
	v_add_u32_e32 v2, 0x46e, v150
	v_addc_co_u32_e64 v9, s[0:1], v19, v1, s[0:1]
	v_mad_u64_u32 v[10:11], s[0:1], s20, v2, 0
	v_lshlrev_b64 v[0:1], 4, v[4:5]
	v_add_u32_e32 v28, 0x2b5, v150
	v_add_co_u32_e64 v12, s[0:1], v18, v0
	v_mov_b32_e32 v0, v11
	v_addc_co_u32_e64 v13, s[0:1], v19, v1, s[0:1]
	v_mad_u64_u32 v[14:15], s[0:1], s21, v2, v[0:1]
	v_mad_u64_u32 v[15:16], s[0:1], s20, v152, 0
	v_mov_b32_e32 v11, v14
	global_load_dwordx4 v[4:7], v[8:9], off
	global_load_dwordx4 v[0:3], v[12:13], off
	v_lshlrev_b64 v[8:9], 4, v[10:11]
	v_mov_b32_e32 v10, v16
	v_mad_u64_u32 v[10:11], s[0:1], s21, v152, v[10:11]
	v_add_co_u32_e64 v20, s[0:1], v18, v8
	v_mov_b32_e32 v16, v10
	v_add_u32_e32 v10, 0x276, v150
	v_addc_co_u32_e64 v21, s[0:1], v19, v9, s[0:1]
	v_lshlrev_b64 v[8:9], 4, v[15:16]
	v_mad_u64_u32 v[16:17], s[0:1], s20, v10, 0
	v_add_co_u32_e64 v22, s[0:1], v18, v8
	v_mov_b32_e32 v8, v17
	v_addc_co_u32_e64 v23, s[0:1], v19, v9, s[0:1]
	v_mad_u64_u32 v[24:25], s[0:1], s21, v10, v[8:9]
	v_mad_u64_u32 v[25:26], s[0:1], s20, v27, 0
	global_load_dwordx4 v[12:15], v[20:21], off
	global_load_dwordx4 v[8:11], v[22:23], off
	v_mov_b32_e32 v17, v24
	v_mov_b32_e32 v20, v26
	v_mad_u64_u32 v[20:21], s[0:1], s21, v27, v[20:21]
	v_mad_u64_u32 v[21:22], s[0:1], s20, v153, 0
	v_lshlrev_b64 v[16:17], 4, v[16:17]
	v_mov_b32_e32 v26, v20
	v_add_co_u32_e64 v16, s[0:1], v18, v16
	v_mov_b32_e32 v20, v22
	v_addc_co_u32_e64 v17, s[0:1], v19, v17, s[0:1]
	v_lshlrev_b64 v[23:24], 4, v[25:26]
	v_mad_u64_u32 v[25:26], s[0:1], s21, v153, v[20:21]
	v_mad_u64_u32 v[26:27], s[0:1], s20, v28, 0
	v_mov_b32_e32 v22, v25
	v_add_co_u32_e64 v23, s[0:1], v18, v23
	v_lshlrev_b64 v[20:21], 4, v[21:22]
	v_mov_b32_e32 v22, v27
	v_addc_co_u32_e64 v24, s[0:1], v19, v24, s[0:1]
	v_mad_u64_u32 v[27:28], s[0:1], s21, v28, v[22:23]
	v_add_u32_e32 v30, 0x4ec, v150
	v_mad_u64_u32 v[28:29], s[0:1], s20, v30, 0
	v_add_co_u32_e64 v20, s[0:1], v18, v20
	v_mov_b32_e32 v22, v29
	v_addc_co_u32_e64 v21, s[0:1], v19, v21, s[0:1]
	v_mad_u64_u32 v[29:30], s[0:1], s21, v30, v[22:23]
	v_add_u32_e32 v151, 0xbd, v150
	v_mad_u64_u32 v[30:31], s[0:1], s20, v151, 0
	v_lshlrev_b64 v[25:26], 4, v[26:27]
	v_add_u32_e32 v34, 0x2f4, v150
	v_add_co_u32_e64 v25, s[0:1], v18, v25
	v_mov_b32_e32 v22, v31
	v_addc_co_u32_e64 v26, s[0:1], v19, v26, s[0:1]
	v_mad_u64_u32 v[31:32], s[0:1], s21, v151, v[22:23]
	v_mad_u64_u32 v[32:33], s[0:1], s20, v34, 0
	v_lshlrev_b64 v[27:28], 4, v[28:29]
	v_add_u32_e32 v36, 0x52b, v150
	v_add_co_u32_e64 v27, s[0:1], v18, v27
	v_mov_b32_e32 v22, v33
	v_addc_co_u32_e64 v28, s[0:1], v19, v28, s[0:1]
	v_mad_u64_u32 v[33:34], s[0:1], s21, v34, v[22:23]
	;; [unrolled: 7-line block ×9, first 2 shown]
	v_mad_u64_u32 v[48:49], s[0:1], s20, v109, 0
	v_lshlrev_b64 v[43:44], 4, v[44:45]
	v_add_u32_e32 v50, 0x3b1, v150
	v_add_co_u32_e64 v52, s[0:1], v18, v43
	v_mov_b32_e32 v22, v49
	v_addc_co_u32_e64 v53, s[0:1], v19, v44, s[0:1]
	v_lshlrev_b64 v[43:44], 4, v[46:47]
	v_mad_u64_u32 v[45:46], s[0:1], s21, v109, v[22:23]
	v_mad_u64_u32 v[46:47], s[0:1], s20, v50, 0
	v_add_co_u32_e64 v54, s[0:1], v18, v43
	v_mov_b32_e32 v49, v45
	v_mov_b32_e32 v22, v47
	v_addc_co_u32_e64 v55, s[0:1], v19, v44, s[0:1]
	v_lshlrev_b64 v[43:44], 4, v[48:49]
	v_mad_u64_u32 v[47:48], s[0:1], s21, v50, v[22:23]
	v_add_u32_e32 v45, 0x5e8, v150
	v_mad_u64_u32 v[48:49], s[0:1], s20, v45, 0
	v_add_co_u32_e64 v117, s[0:1], v18, v43
	v_mov_b32_e32 v22, v49
	v_addc_co_u32_e64 v118, s[0:1], v19, v44, s[0:1]
	v_lshlrev_b64 v[43:44], 4, v[46:47]
	v_mad_u64_u32 v[45:46], s[0:1], s21, v45, v[22:23]
	v_add_u32_e32 v111, 0x1b9, v150
	v_mad_u64_u32 v[46:47], s[0:1], s20, v111, 0
	v_add_co_u32_e64 v119, s[0:1], v18, v43
	v_mov_b32_e32 v49, v45
	v_mov_b32_e32 v22, v47
	v_addc_co_u32_e64 v120, s[0:1], v19, v44, s[0:1]
	v_lshlrev_b64 v[43:44], 4, v[48:49]
	v_mad_u64_u32 v[47:48], s[0:1], s21, v111, v[22:23]
	v_add_u32_e32 v45, 0x3f0, v150
	v_mad_u64_u32 v[48:49], s[0:1], s20, v45, 0
	v_add_co_u32_e64 v121, s[0:1], v18, v43
	v_mov_b32_e32 v22, v49
	v_addc_co_u32_e64 v122, s[0:1], v19, v44, s[0:1]
	v_lshlrev_b64 v[43:44], 4, v[46:47]
	v_mad_u64_u32 v[45:46], s[0:1], s21, v45, v[22:23]
	v_add_u32_e32 v50, 0x627, v150
	;; [unrolled: 15-line block ×3, first 2 shown]
	v_mad_u64_u32 v[46:47], s[0:1], s20, v50, 0
	v_add_co_u32_e64 v127, s[0:1], v18, v43
	v_mov_b32_e32 v49, v45
	v_mov_b32_e32 v22, v47
	v_addc_co_u32_e64 v128, s[0:1], v19, v44, s[0:1]
	v_lshlrev_b64 v[43:44], 4, v[48:49]
	v_mad_u64_u32 v[47:48], s[0:1], s21, v50, v[22:23]
	v_add_u32_e32 v45, 0x666, v150
	v_mad_u64_u32 v[48:49], s[0:1], s20, v45, 0
	v_add_co_u32_e64 v129, s[0:1], v18, v43
	v_mov_b32_e32 v22, v49
	v_addc_co_u32_e64 v130, s[0:1], v19, v44, s[0:1]
	v_lshlrev_b64 v[43:44], 4, v[46:47]
	v_mad_u64_u32 v[45:46], s[0:1], s21, v45, v[22:23]
	v_add_co_u32_e64 v131, s[0:1], v18, v43
	v_mov_b32_e32 v49, v45
	global_load_dwordx4 v[104:107], v[16:17], off
	global_load_dwordx4 v[96:99], v[23:24], off
	v_lshlrev_b64 v[16:17], 4, v[48:49]
	v_addc_co_u32_e64 v132, s[0:1], v19, v44, s[0:1]
	v_add_co_u32_e64 v133, s[0:1], v18, v16
	v_addc_co_u32_e64 v134, s[0:1], v19, v17, s[0:1]
	global_load_dwordx4 v[100:103], v[20:21], off
	global_load_dwordx4 v[92:95], v[25:26], off
	;; [unrolled: 1-line block ×12, first 2 shown]
                                        ; kill: killed $vgpr41 killed $vgpr42
                                        ; kill: killed $vgpr35 killed $vgpr36
                                        ; kill: killed $vgpr29 killed $vgpr30
                                        ; kill: killed $vgpr52 killed $vgpr53
                                        ; kill: killed $vgpr20 killed $vgpr21
                                        ; kill: killed $vgpr37 killed $vgpr38
                                        ; kill: killed $vgpr31 killed $vgpr32
                                        ; kill: killed $vgpr54 killed $vgpr55
                                        ; kill: killed $vgpr25 killed $vgpr26
                                        ; kill: killed $vgpr39 killed $vgpr40
                                        ; kill: killed $vgpr33 killed $vgpr34
                                        ; kill: killed $vgpr27 killed $vgpr28
	global_load_dwordx4 v[56:59], v[117:118], off
	s_nop 0
	global_load_dwordx4 v[52:55], v[119:120], off
	global_load_dwordx4 v[40:43], v[121:122], off
	global_load_dwordx4 v[28:31], v[123:124], off
	global_load_dwordx4 v[36:39], v[125:126], off
	global_load_dwordx4 v[32:35], v[127:128], off
                                        ; kill: killed $vgpr123 killed $vgpr124
                                        ; kill: killed $vgpr117 killed $vgpr118
                                        ; kill: killed $vgpr125 killed $vgpr126
                                        ; kill: killed $vgpr119 killed $vgpr120
                                        ; kill: killed $vgpr127 killed $vgpr128
                                        ; kill: killed $vgpr121 killed $vgpr122
	global_load_dwordx4 v[24:27], v[129:130], off
	global_load_dwordx4 v[16:19], v[131:132], off
	;; [unrolled: 1-line block ×3, first 2 shown]
.LBB0_13:
	s_or_b64 exec, exec, s[6:7]
	s_waitcnt vmcnt(24)
	v_add_f64 v[119:120], v[14:15], v[2:3]
	v_add_f64 v[121:122], v[0:1], v[4:5]
	;; [unrolled: 1-line block ×4, first 2 shown]
	s_waitcnt vmcnt(21)
	v_add_f64 v[125:126], v[96:97], v[104:105]
	v_add_f64 v[127:128], v[98:99], v[106:107]
	v_add_f64 v[133:134], v[0:1], -v[12:13]
	v_add_f64 v[2:3], v[2:3], -v[14:15]
	v_fma_f64 v[119:120], v[119:120], -0.5, v[6:7]
	v_add_f64 v[0:1], v[12:13], v[121:122]
	v_add_f64 v[6:7], v[104:105], v[8:9]
	;; [unrolled: 1-line block ×4, first 2 shown]
	v_fma_f64 v[8:9], v[125:126], -0.5, v[8:9]
	v_fma_f64 v[124:125], v[127:128], -0.5, v[10:11]
	v_add_f64 v[104:105], v[104:105], -v[96:97]
	s_waitcnt vmcnt(18)
	v_add_f64 v[10:11], v[88:89], v[92:93]
	v_add_f64 v[14:15], v[90:91], v[94:95]
	;; [unrolled: 1-line block ×6, first 2 shown]
	v_add_f64 v[94:95], v[94:95], -v[90:91]
	v_add_f64 v[92:93], v[92:93], -v[88:89]
	;; [unrolled: 1-line block ×3, first 2 shown]
	v_fma_f64 v[10:11], v[10:11], -0.5, v[100:101]
	v_fma_f64 v[100:101], v[14:15], -0.5, v[102:103]
	s_waitcnt vmcnt(15)
	v_add_f64 v[14:15], v[76:77], v[80:81]
	v_add_f64 v[12:13], v[88:89], v[12:13]
	;; [unrolled: 1-line block ×6, first 2 shown]
	v_add_f64 v[82:83], v[82:83], -v[78:79]
	v_add_f64 v[80:81], v[80:81], -v[76:77]
	v_fma_f64 v[14:15], v[14:15], -0.5, v[84:85]
	s_waitcnt vmcnt(6)
	v_add_f64 v[102:103], v[40:41], v[52:53]
	v_add_f64 v[128:129], v[48:49], -v[44:45]
	v_add_f64 v[76:77], v[76:77], v[90:91]
	v_add_f64 v[78:79], v[78:79], v[96:97]
	;; [unrolled: 1-line block ×4, first 2 shown]
	v_fma_f64 v[84:85], v[98:99], -0.5, v[86:87]
	v_add_f64 v[86:87], v[64:65], v[68:69]
	v_add_f64 v[98:99], v[66:67], v[70:71]
	v_add_f64 v[70:71], v[70:71], -v[66:67]
	v_add_f64 v[68:69], v[68:69], -v[64:65]
	v_fma_f64 v[4:5], v[117:118], -0.5, v[4:5]
	v_add_f64 v[64:65], v[64:65], v[90:91]
	v_add_f64 v[66:67], v[66:67], v[96:97]
	;; [unrolled: 1-line block ×4, first 2 shown]
	v_fma_f64 v[72:73], v[86:87], -0.5, v[72:73]
	v_add_f64 v[86:87], v[44:45], v[48:49]
	v_fma_f64 v[74:75], v[98:99], -0.5, v[74:75]
	v_add_f64 v[98:99], v[46:47], v[50:51]
	v_add_f64 v[50:51], v[50:51], -v[46:47]
	v_add_f64 v[48:49], v[52:53], v[56:57]
	v_add_f64 v[44:45], v[44:45], v[90:91]
	;; [unrolled: 1-line block ×3, first 2 shown]
	v_fma_f64 v[46:47], v[102:103], -0.5, v[56:57]
	v_add_f64 v[56:57], v[54:55], v[58:59]
	s_waitcnt vmcnt(4)
	v_add_f64 v[96:97], v[38:39], v[30:31]
	v_fma_f64 v[60:61], v[86:87], -0.5, v[60:61]
	v_add_f64 v[86:87], v[42:43], v[54:55]
	v_fma_f64 v[62:63], v[98:99], -0.5, v[62:63]
	v_add_f64 v[54:55], v[54:55], -v[42:43]
	s_waitcnt vmcnt(3)
	v_add_f64 v[98:99], v[32:33], v[36:37]
	s_mov_b32 s6, 0xe8584caa
	v_add_f64 v[56:57], v[42:43], v[56:57]
	v_add_f64 v[42:43], v[34:35], v[38:39]
	v_add_f64 v[38:39], v[38:39], -v[34:35]
	v_add_f64 v[137:138], v[34:35], v[96:97]
	s_waitcnt vmcnt(0)
	v_add_f64 v[34:35], v[20:21], v[16:17]
	s_mov_b32 s7, 0x3febb67a
	v_fma_f64 v[58:59], v[86:87], -0.5, v[58:59]
	v_add_f64 v[86:87], v[52:53], -v[40:41]
	v_add_f64 v[40:41], v[40:41], v[48:49]
	v_fma_f64 v[48:49], v[2:3], s[6:7], v[4:5]
	v_add_f64 v[52:53], v[36:37], v[28:29]
	v_add_f64 v[102:103], v[36:37], -v[32:33]
	v_fma_f64 v[28:29], v[98:99], -0.5, v[28:29]
	v_add_f64 v[36:37], v[22:23], v[18:19]
	v_fma_f64 v[139:140], v[42:43], -0.5, v[30:31]
	v_add_f64 v[30:31], v[16:17], v[24:25]
	v_add_f64 v[42:43], v[18:19], v[26:27]
	v_fma_f64 v[24:25], v[34:35], -0.5, v[24:25]
	v_add_f64 v[18:19], v[18:19], -v[22:23]
	v_mad_u32_u24 v121, v150, 24, 0
	s_mov_b32 s11, 0xbfebb67a
	s_mov_b32 s10, s6
	ds_write2_b64 v121, v[0:1], v[48:49] offset1:1
	v_fma_f64 v[0:1], v[2:3], s[10:11], v[4:5]
	v_add_f64 v[32:33], v[32:33], v[52:53]
	v_fma_f64 v[141:142], v[36:37], -0.5, v[26:27]
	v_add_f64 v[143:144], v[16:17], -v[20:21]
	v_add_f64 v[16:17], v[20:21], v[30:31]
	v_add_f64 v[145:146], v[22:23], v[42:43]
	v_fma_f64 v[2:3], v[106:107], s[6:7], v[8:9]
	v_fma_f64 v[4:5], v[106:107], s[10:11], v[8:9]
	;; [unrolled: 1-line block ×17, first 2 shown]
	ds_write_b64 v121, v[0:1] offset:16
	v_mad_i32_i24 v94, v108, 24, 0
	v_lshlrev_b32_e32 v0, 4, v108
	v_mad_i32_i24 v95, v110, 24, 0
	v_sub_u32_e32 v117, v94, v0
	v_lshlrev_b32_e32 v0, 4, v110
	v_mad_i32_i24 v106, v109, 24, 0
	v_sub_u32_e32 v122, v95, v0
	;; [unrolled: 3-line block ×3, first 2 shown]
	v_lshlrev_b32_e32 v0, 4, v111
	v_mad_i32_i24 v131, v116, 24, 0
	v_lshl_add_u32 v156, v150, 3, 0
	v_sub_u32_e32 v132, v107, v0
	v_lshlrev_b32_e32 v0, 4, v116
	v_mad_i32_i24 v154, v152, 24, 0
	v_mad_i32_i24 v155, v153, 24, 0
	v_mad_i32_i24 v161, v151, 24, 0
	v_add_u32_e32 v157, 0x1000, v156
	v_add_u32_e32 v158, 0x2000, v156
	v_lshlrev_b32_e32 v162, 4, v152
	v_lshlrev_b32_e32 v163, 4, v153
	;; [unrolled: 1-line block ×3, first 2 shown]
	v_add_u32_e32 v159, 0x2800, v156
	v_sub_u32_e32 v123, v131, v0
	s_load_dwordx2 s[4:5], s[4:5], 0x0
	ds_write2_b64 v154, v[6:7], v[2:3] offset1:1
	ds_write_b64 v154, v[4:5] offset:16
	ds_write2_b64 v155, v[12:13], v[8:9] offset1:1
	ds_write_b64 v155, v[10:11] offset:16
	;; [unrolled: 2-line block ×8, first 2 shown]
	s_waitcnt lgkmcnt(0)
	; wave barrier
	s_waitcnt lgkmcnt(0)
	ds_read2_b64 v[12:15], v157 offset0:55 offset1:118
	ds_read2_b64 v[4:7], v158 offset0:47 offset1:110
	v_sub_u32_e32 v96, v154, v162
	ds_read2_b64 v[8:11], v158 offset0:173 offset1:236
	v_sub_u32_e32 v97, v155, v163
	v_sub_u32_e32 v99, v161, v98
	ds_read_b64 v[52:53], v156
	ds_read_b64 v[50:51], v96
	;; [unrolled: 1-line block ×4, first 2 shown]
	v_add_u32_e32 v160, 0x1800, v156
	ds_read_b64 v[44:45], v117
	ds_read_b64 v[42:43], v122
	;; [unrolled: 1-line block ×4, first 2 shown]
	v_add_u32_e32 v118, 0x3000, v156
	ds_read_b64 v[36:37], v123
	ds_read2_b64 v[28:31], v157 offset0:181 offset1:244
	ds_read2_b64 v[32:35], v159 offset0:43 offset1:106
	;; [unrolled: 1-line block ×6, first 2 shown]
	s_waitcnt lgkmcnt(0)
	; wave barrier
	s_waitcnt lgkmcnt(0)
	ds_write2_b64 v121, v[135:136], v[54:55] offset1:1
	v_fma_f64 v[54:55], v[133:134], s[6:7], v[119:120]
	v_fma_f64 v[60:61], v[104:105], s[10:11], v[124:125]
	;; [unrolled: 1-line block ×8, first 2 shown]
	ds_write_b64 v121, v[54:55] offset:16
	ds_write2_b64 v154, v[126:127], v[60:61] offset1:1
	ds_write_b64 v154, v[64:65] offset:16
	ds_write2_b64 v155, v[88:89], v[70:71] offset1:1
	;; [unrolled: 2-line block ×4, first 2 shown]
	v_fma_f64 v[54:55], v[68:69], s[6:7], v[74:75]
	v_fma_f64 v[60:61], v[128:129], s[10:11], v[62:63]
	;; [unrolled: 1-line block ×8, first 2 shown]
	s_movk_i32 s0, 0xab
	v_fma_f64 v[72:73], v[143:144], s[6:7], v[141:142]
	ds_write_b64 v94, v[54:55] offset:16
	ds_write2_b64 v95, v[90:91], v[60:61] offset1:1
	ds_write_b64 v95, v[62:63] offset:16
	ds_write2_b64 v106, v[56:57], v[64:65] offset1:1
	;; [unrolled: 2-line block ×4, first 2 shown]
	ds_write_b64 v131, v[72:73] offset:16
	v_mul_lo_u16_sdwa v54, v150, s0 dst_sel:DWORD dst_unused:UNUSED_PAD src0_sel:BYTE_0 src1_sel:DWORD
	v_lshrrev_b16_e32 v105, 9, v54
	v_mul_lo_u16_e32 v54, 3, v105
	v_sub_u16_e32 v106, v150, v54
	v_mov_b32_e32 v100, 5
	v_lshlrev_b32_sdwa v66, v100, v106 dst_sel:DWORD dst_unused:UNUSED_PAD src0_sel:DWORD src1_sel:BYTE_0
	s_waitcnt lgkmcnt(0)
	; wave barrier
	s_waitcnt lgkmcnt(0)
	global_load_dwordx4 v[54:57], v66, s[8:9]
	v_mul_lo_u16_sdwa v58, v152, s0 dst_sel:DWORD dst_unused:UNUSED_PAD src0_sel:BYTE_0 src1_sel:DWORD
	v_lshrrev_b16_e32 v102, 9, v58
	v_mul_lo_u16_e32 v58, 3, v102
	v_sub_u16_e32 v101, v152, v58
	v_lshlrev_b32_sdwa v67, v100, v101 dst_sel:DWORD dst_unused:UNUSED_PAD src0_sel:DWORD src1_sel:BYTE_0
	global_load_dwordx4 v[58:61], v67, s[8:9]
	global_load_dwordx4 v[62:65], v67, s[8:9] offset:16
	v_mul_lo_u16_sdwa v67, v153, s0 dst_sel:DWORD dst_unused:UNUSED_PAD src0_sel:BYTE_0 src1_sel:DWORD
	v_lshrrev_b16_e32 v104, 9, v67
	v_mul_lo_u16_e32 v67, 3, v104
	v_sub_u16_e32 v103, v153, v67
	v_lshlrev_b32_sdwa v67, v100, v103 dst_sel:DWORD dst_unused:UNUSED_PAD src0_sel:DWORD src1_sel:BYTE_0
	global_load_dwordx4 v[68:71], v67, s[8:9] offset:16
	global_load_dwordx4 v[72:75], v67, s[8:9]
	v_mul_lo_u16_sdwa v67, v151, s0 dst_sel:DWORD dst_unused:UNUSED_PAD src0_sel:BYTE_0 src1_sel:DWORD
	v_lshrrev_b16_e32 v119, 9, v67
	v_mul_lo_u16_e32 v67, 3, v119
	v_sub_u16_e32 v107, v151, v67
	v_lshlrev_b32_sdwa v67, v100, v107 dst_sel:DWORD dst_unused:UNUSED_PAD src0_sel:DWORD src1_sel:BYTE_0
	global_load_dwordx4 v[76:79], v67, s[8:9]
	global_load_dwordx4 v[80:83], v67, s[8:9] offset:16
	s_mov_b32 s0, 0xaaab
	v_mul_u32_u24_sdwa v67, v108, s0 dst_sel:DWORD dst_unused:UNUSED_PAD src0_sel:WORD_0 src1_sel:DWORD
	v_lshrrev_b32_e32 v121, 17, v67
	v_mul_lo_u16_e32 v67, 3, v121
	v_sub_u16_e32 v120, v108, v67
	v_lshlrev_b32_e32 v67, 5, v120
	global_load_dwordx4 v[84:87], v67, s[8:9] offset:16
	global_load_dwordx4 v[88:91], v67, s[8:9]
	v_mul_u32_u24_sdwa v67, v110, s0 dst_sel:DWORD dst_unused:UNUSED_PAD src0_sel:WORD_0 src1_sel:DWORD
	v_lshrrev_b32_e32 v131, 17, v67
	v_mul_lo_u16_e32 v67, 3, v131
	v_sub_u16_e32 v149, v110, v67
	v_lshlrev_b32_e32 v67, 5, v149
	global_load_dwordx4 v[124:127], v67, s[8:9]
	global_load_dwordx4 v[133:136], v67, s[8:9] offset:16
	v_mul_u32_u24_sdwa v67, v109, s0 dst_sel:DWORD dst_unused:UNUSED_PAD src0_sel:WORD_0 src1_sel:DWORD
	v_lshrrev_b32_e32 v198, 17, v67
	v_mul_lo_u16_e32 v67, 3, v198
	v_sub_u16_e32 v199, v109, v67
	v_lshlrev_b32_e32 v67, 5, v199
	global_load_dwordx4 v[137:140], v67, s[8:9] offset:16
	global_load_dwordx4 v[141:144], v67, s[8:9]
	v_mul_u32_u24_sdwa v67, v111, s0 dst_sel:DWORD dst_unused:UNUSED_PAD src0_sel:WORD_0 src1_sel:DWORD
	v_lshrrev_b32_e32 v200, 17, v67
	v_mul_lo_u16_e32 v67, 3, v200
	v_sub_u16_e32 v201, v111, v67
	v_lshlrev_b32_e32 v67, 5, v201
	global_load_dwordx4 v[145:148], v67, s[8:9]
	global_load_dwordx4 v[164:167], v66, s[8:9] offset:16
	v_mul_u32_u24_sdwa v66, v116, s0 dst_sel:DWORD dst_unused:UNUSED_PAD src0_sel:WORD_0 src1_sel:DWORD
	v_lshrrev_b32_e32 v202, 17, v66
	v_mul_lo_u16_e32 v66, 3, v202
	v_sub_u16_e32 v203, v116, v66
	v_lshlrev_b32_e32 v66, 5, v203
	global_load_dwordx4 v[168:171], v66, s[8:9]
	global_load_dwordx4 v[172:175], v67, s[8:9] offset:16
	global_load_dwordx4 v[176:179], v66, s[8:9] offset:16
	ds_read2_b64 v[92:95], v157 offset0:55 offset1:118
	ds_read2_b64 v[180:183], v158 offset0:173 offset1:236
	s_mov_b32 s0, 0xe38f
	s_waitcnt vmcnt(17) lgkmcnt(1)
	v_mul_f64 v[66:67], v[92:93], v[56:57]
	v_mul_f64 v[56:57], v[12:13], v[56:57]
	s_waitcnt vmcnt(16)
	v_mul_f64 v[128:129], v[94:95], v[60:61]
	v_mul_f64 v[60:61], v[14:15], v[60:61]
	v_fma_f64 v[184:185], v[12:13], v[54:55], -v[66:67]
	s_waitcnt vmcnt(15) lgkmcnt(0)
	v_mul_f64 v[12:13], v[180:181], v[64:65]
	v_fma_f64 v[186:187], v[92:93], v[54:55], v[56:57]
	ds_read2_b64 v[54:57], v157 offset0:181 offset1:244
	v_mul_f64 v[64:65], v[8:9], v[64:65]
	v_fma_f64 v[128:129], v[14:15], v[58:59], -v[128:129]
	v_fma_f64 v[188:189], v[94:95], v[58:59], v[60:61]
	s_waitcnt vmcnt(14)
	v_mul_f64 v[58:59], v[182:183], v[70:71]
	v_mul_f64 v[60:61], v[10:11], v[70:71]
	s_waitcnt vmcnt(13) lgkmcnt(0)
	v_mul_f64 v[70:71], v[54:55], v[74:75]
	v_fma_f64 v[190:191], v[8:9], v[62:63], -v[12:13]
	ds_read2_b64 v[12:15], v159 offset0:43 offset1:106
	v_mul_f64 v[8:9], v[28:29], v[74:75]
	v_fma_f64 v[180:181], v[180:181], v[62:63], v[64:65]
	s_waitcnt vmcnt(12)
	v_mul_f64 v[62:63], v[56:57], v[78:79]
	v_fma_f64 v[66:67], v[10:11], v[68:69], -v[58:59]
	s_waitcnt vmcnt(11) lgkmcnt(0)
	v_mul_f64 v[58:59], v[12:13], v[82:83]
	v_fma_f64 v[74:75], v[28:29], v[72:73], -v[70:71]
	v_mul_f64 v[28:29], v[30:31], v[78:79]
	v_fma_f64 v[68:69], v[182:183], v[68:69], v[60:61]
	v_mul_f64 v[60:61], v[32:33], v[82:83]
	v_fma_f64 v[182:183], v[54:55], v[72:73], v[8:9]
	s_waitcnt vmcnt(10)
	v_mul_f64 v[54:55], v[14:15], v[86:87]
	ds_read2_b64 v[8:11], v160 offset0:51 offset1:114
	v_fma_f64 v[92:93], v[32:33], v[80:81], -v[58:59]
	s_waitcnt vmcnt(9)
	v_mul_f64 v[32:33], v[24:25], v[90:91]
	v_fma_f64 v[78:79], v[30:31], v[76:77], -v[62:63]
	v_fma_f64 v[192:193], v[56:57], v[76:77], v[28:29]
	ds_read2_b64 v[28:31], v159 offset0:169 offset1:232
	v_fma_f64 v[80:81], v[12:13], v[80:81], v[60:61]
	s_waitcnt lgkmcnt(1)
	v_mul_f64 v[12:13], v[8:9], v[90:91]
	v_mul_f64 v[62:63], v[34:35], v[86:87]
	v_fma_f64 v[194:195], v[34:35], v[84:85], -v[54:55]
	s_waitcnt vmcnt(8)
	v_mul_f64 v[54:55], v[26:27], v[126:127]
	s_waitcnt vmcnt(7) lgkmcnt(0)
	v_mul_f64 v[56:57], v[28:29], v[135:136]
	v_fma_f64 v[196:197], v[8:9], v[88:89], v[32:33]
	v_mul_f64 v[8:9], v[20:21], v[135:136]
	v_mul_f64 v[34:35], v[10:11], v[126:127]
	v_fma_f64 v[126:127], v[24:25], v[88:89], -v[12:13]
	s_waitcnt vmcnt(6)
	v_mul_f64 v[24:25], v[30:31], v[139:140]
	s_waitcnt vmcnt(5)
	v_mul_f64 v[32:33], v[16:17], v[143:144]
	v_fma_f64 v[72:73], v[14:15], v[84:85], v[62:63]
	ds_read2_b64 v[12:15], v160 offset0:177 offset1:240
	v_fma_f64 v[90:91], v[10:11], v[124:125], v[54:55]
	v_fma_f64 v[86:87], v[20:21], v[133:134], -v[56:57]
	v_mul_f64 v[20:21], v[22:23], v[139:140]
	v_fma_f64 v[70:71], v[28:29], v[133:134], v[8:9]
	ds_read2_b64 v[8:11], v158 offset0:47 offset1:110
	v_fma_f64 v[84:85], v[26:27], v[124:125], -v[34:35]
	s_waitcnt lgkmcnt(1)
	v_mul_f64 v[26:27], v[12:13], v[143:144]
	v_fma_f64 v[56:57], v[22:23], v[137:138], -v[24:25]
	s_waitcnt vmcnt(4)
	v_mul_f64 v[24:25], v[14:15], v[147:148]
	v_mul_f64 v[28:29], v[18:19], v[147:148]
	v_fma_f64 v[62:63], v[12:13], v[141:142], v[32:33]
	s_waitcnt vmcnt(3) lgkmcnt(0)
	v_mul_f64 v[12:13], v[10:11], v[166:167]
	v_fma_f64 v[54:55], v[30:31], v[137:138], v[20:21]
	ds_read2_b64 v[20:23], v118 offset0:39 offset1:102
	v_fma_f64 v[58:59], v[16:17], v[141:142], -v[26:27]
	v_mul_f64 v[16:17], v[6:7], v[166:167]
	v_fma_f64 v[60:61], v[18:19], v[145:146], -v[24:25]
	v_fma_f64 v[64:65], v[14:15], v[145:146], v[28:29]
	s_waitcnt vmcnt(2)
	v_mul_f64 v[14:15], v[8:9], v[170:171]
	s_waitcnt vmcnt(1) lgkmcnt(0)
	v_mul_f64 v[24:25], v[20:21], v[174:175]
	v_fma_f64 v[6:7], v[6:7], v[164:165], -v[12:13]
	s_waitcnt vmcnt(0)
	v_mul_f64 v[12:13], v[22:23], v[178:179]
	v_mul_f64 v[18:19], v[4:5], v[170:171]
	;; [unrolled: 1-line block ×3, first 2 shown]
	v_fma_f64 v[10:11], v[10:11], v[164:165], v[16:17]
	v_mov_b32_e32 v164, 3
	v_fma_f64 v[82:83], v[4:5], v[168:169], -v[14:15]
	v_fma_f64 v[94:95], v[0:1], v[172:173], -v[24:25]
	v_add_f64 v[0:1], v[184:185], v[6:7]
	v_add_f64 v[4:5], v[52:53], v[184:185]
	v_mul_f64 v[16:17], v[2:3], v[178:179]
	v_fma_f64 v[124:125], v[2:3], v[176:177], -v[12:13]
	v_mul_u32_u24_e32 v2, 0x48, v105
	v_lshlrev_b32_sdwa v3, v164, v106 dst_sel:DWORD dst_unused:UNUSED_PAD src0_sel:DWORD src1_sel:BYTE_0
	v_fma_f64 v[88:89], v[8:9], v[168:169], v[18:19]
	v_add3_u32 v169, 0, v2, v3
	v_fma_f64 v[0:1], v[0:1], -0.5, v[52:53]
	v_add_f64 v[2:3], v[4:5], v[6:7]
	v_add_f64 v[4:5], v[186:187], -v[10:11]
	v_add_f64 v[8:9], v[128:129], v[190:191]
	v_fma_f64 v[76:77], v[20:21], v[172:173], v[26:27]
	v_fma_f64 v[133:134], v[22:23], v[176:177], v[16:17]
	v_add_f64 v[18:19], v[188:189], -v[180:181]
	v_add_f64 v[20:21], v[74:75], v[66:67]
	ds_read_b64 v[12:13], v156
	ds_read_b64 v[14:15], v96
	;; [unrolled: 1-line block ×9, first 2 shown]
	v_fma_f64 v[16:17], v[4:5], s[6:7], v[0:1]
	v_fma_f64 v[0:1], v[4:5], s[10:11], v[0:1]
	v_fma_f64 v[4:5], v[8:9], -0.5, v[50:51]
	v_add_f64 v[8:9], v[50:51], v[128:129]
	s_waitcnt lgkmcnt(0)
	; wave barrier
	s_waitcnt lgkmcnt(0)
	ds_write2_b64 v169, v[2:3], v[16:17] offset1:3
	ds_write_b64 v169, v[0:1] offset:48
	v_add_f64 v[16:17], v[48:49], v[74:75]
	v_fma_f64 v[2:3], v[18:19], s[6:7], v[4:5]
	v_add_f64 v[0:1], v[8:9], v[190:191]
	v_fma_f64 v[4:5], v[18:19], s[10:11], v[4:5]
	v_fma_f64 v[8:9], v[20:21], -0.5, v[48:49]
	v_add_f64 v[18:19], v[182:183], -v[68:69]
	v_add_f64 v[20:21], v[78:79], v[92:93]
	v_mul_u32_u24_e32 v22, 0x48, v102
	v_lshlrev_b32_sdwa v23, v164, v101 dst_sel:DWORD dst_unused:UNUSED_PAD src0_sel:DWORD src1_sel:BYTE_0
	v_add3_u32 v170, 0, v22, v23
	ds_write2_b64 v170, v[0:1], v[2:3] offset1:3
	ds_write_b64 v170, v[4:5] offset:48
	v_add_f64 v[0:1], v[16:17], v[66:67]
	v_add_f64 v[16:17], v[46:47], v[78:79]
	v_fma_f64 v[2:3], v[18:19], s[6:7], v[8:9]
	v_fma_f64 v[4:5], v[18:19], s[10:11], v[8:9]
	v_fma_f64 v[8:9], v[20:21], -0.5, v[46:47]
	v_add_f64 v[18:19], v[192:193], -v[80:81]
	v_add_f64 v[20:21], v[126:127], v[194:195]
	v_mul_u32_u24_e32 v22, 0x48, v104
	v_lshlrev_b32_sdwa v23, v164, v103 dst_sel:DWORD dst_unused:UNUSED_PAD src0_sel:DWORD src1_sel:BYTE_0
	v_add3_u32 v171, 0, v22, v23
	ds_write2_b64 v171, v[0:1], v[2:3] offset1:3
	ds_write_b64 v171, v[4:5] offset:48
	v_add_f64 v[0:1], v[16:17], v[92:93]
	v_add_f64 v[16:17], v[44:45], v[126:127]
	v_fma_f64 v[2:3], v[18:19], s[6:7], v[8:9]
	;; [unrolled: 12-line block ×3, first 2 shown]
	v_fma_f64 v[4:5], v[18:19], s[10:11], v[8:9]
	v_fma_f64 v[8:9], v[20:21], -0.5, v[42:43]
	v_add_f64 v[18:19], v[90:91], -v[70:71]
	v_add_f64 v[20:21], v[58:59], v[56:57]
	v_mul_u32_u24_e32 v22, 0x48, v121
	v_lshlrev_b32_e32 v23, 3, v120
	v_add3_u32 v121, 0, v22, v23
	ds_write2_b64 v121, v[0:1], v[2:3] offset1:3
	ds_write_b64 v121, v[4:5] offset:48
	v_add_f64 v[0:1], v[16:17], v[86:87]
	v_add_f64 v[16:17], v[40:41], v[58:59]
	v_fma_f64 v[2:3], v[18:19], s[6:7], v[8:9]
	v_fma_f64 v[4:5], v[18:19], s[10:11], v[8:9]
	v_fma_f64 v[8:9], v[20:21], -0.5, v[40:41]
	v_add_f64 v[18:19], v[62:63], -v[54:55]
	v_add_f64 v[20:21], v[60:61], v[94:95]
	v_mul_u32_u24_e32 v22, 0x48, v131
	v_lshlrev_b32_e32 v23, 3, v149
	v_add3_u32 v131, 0, v22, v23
	ds_write2_b64 v131, v[0:1], v[2:3] offset1:3
	ds_write_b64 v131, v[4:5] offset:48
	v_add_f64 v[0:1], v[16:17], v[56:57]
	v_add_f64 v[16:17], v[38:39], v[60:61]
	v_fma_f64 v[2:3], v[18:19], s[6:7], v[8:9]
	v_fma_f64 v[4:5], v[20:21], -0.5, v[38:39]
	v_add_f64 v[20:21], v[64:65], -v[76:77]
	v_add_f64 v[22:23], v[82:83], v[124:125]
	v_mul_u32_u24_e32 v24, 0x48, v198
	v_lshlrev_b32_e32 v25, 3, v199
	v_fma_f64 v[8:9], v[18:19], s[10:11], v[8:9]
	v_add3_u32 v149, 0, v24, v25
	ds_write2_b64 v149, v[0:1], v[2:3] offset1:3
	v_add_f64 v[0:1], v[16:17], v[94:95]
	v_fma_f64 v[2:3], v[20:21], s[6:7], v[4:5]
	v_fma_f64 v[16:17], v[22:23], -0.5, v[36:37]
	v_add_f64 v[18:19], v[36:37], v[82:83]
	v_add_f64 v[22:23], v[88:89], -v[133:134]
	ds_write_b64 v149, v[8:9] offset:48
	v_mul_u32_u24_e32 v8, 0x48, v200
	v_fma_f64 v[4:5], v[20:21], s[10:11], v[4:5]
	v_lshlrev_b32_e32 v9, 3, v201
	v_add3_u32 v172, 0, v8, v9
	ds_write2_b64 v172, v[0:1], v[2:3] offset1:3
	v_add_f64 v[0:1], v[18:19], v[124:125]
	v_fma_f64 v[2:3], v[22:23], s[6:7], v[16:17]
	v_add_f64 v[18:19], v[186:187], v[10:11]
	v_add_f64 v[8:9], v[12:13], v[186:187]
	ds_write_b64 v172, v[4:5] offset:48
	v_fma_f64 v[4:5], v[22:23], s[10:11], v[16:17]
	v_mul_u32_u24_e32 v16, 0x48, v202
	v_lshlrev_b32_e32 v17, 3, v203
	v_add3_u32 v173, 0, v16, v17
	ds_write2_b64 v173, v[0:1], v[2:3] offset1:3
	v_add_f64 v[0:1], v[188:189], v[180:181]
	v_fma_f64 v[103:104], v[18:19], -0.5, v[12:13]
	v_add_f64 v[119:120], v[184:185], -v[6:7]
	v_add_f64 v[147:148], v[14:15], v[188:189]
	v_add_f64 v[128:129], v[128:129], -v[190:191]
	v_add_f64 v[101:102], v[8:9], v[10:11]
	ds_write_b64 v173, v[4:5] offset:48
	s_waitcnt lgkmcnt(0)
	v_fma_f64 v[165:166], v[0:1], -0.5, v[14:15]
	; wave barrier
	v_fma_f64 v[167:168], v[119:120], s[10:11], v[103:104]
	v_fma_f64 v[103:104], v[119:120], s[6:7], v[103:104]
	v_add_f64 v[119:120], v[147:148], v[180:181]
	ds_read_b64 v[52:53], v156
	ds_read_b64 v[50:51], v96
	;; [unrolled: 1-line block ×9, first 2 shown]
	ds_read2_b64 v[32:35], v157 offset0:55 offset1:118
	ds_read2_b64 v[4:7], v158 offset0:47 offset1:110
	;; [unrolled: 1-line block ×9, first 2 shown]
	v_fma_f64 v[147:148], v[128:129], s[10:11], v[165:166]
	v_fma_f64 v[128:129], v[128:129], s[6:7], v[165:166]
	v_add_f64 v[165:166], v[182:183], v[68:69]
	s_waitcnt lgkmcnt(0)
	; wave barrier
	s_waitcnt lgkmcnt(0)
	ds_write2_b64 v169, v[101:102], v[167:168] offset1:3
	v_add_f64 v[101:102], v[105:106], v[182:183]
	ds_write_b64 v169, v[103:104] offset:48
	v_add_f64 v[103:104], v[192:193], v[80:81]
	ds_write2_b64 v170, v[119:120], v[147:148] offset1:3
	ds_write_b64 v170, v[128:129] offset:48
	v_add_f64 v[119:120], v[196:197], v[72:73]
	v_fma_f64 v[105:106], v[165:166], -0.5, v[105:106]
	v_add_f64 v[66:67], v[74:75], -v[66:67]
	v_add_f64 v[74:75], v[135:136], v[192:193]
	v_add_f64 v[68:69], v[101:102], v[68:69]
	v_add_f64 v[78:79], v[78:79], -v[92:93]
	v_fma_f64 v[101:102], v[103:104], -0.5, v[135:136]
	v_add_f64 v[92:93], v[137:138], v[196:197]
	v_fma_f64 v[103:104], v[119:120], -0.5, v[137:138]
	v_add_f64 v[119:120], v[126:127], -v[194:195]
	v_fma_f64 v[126:127], v[66:67], s[10:11], v[105:106]
	v_fma_f64 v[66:67], v[66:67], s[6:7], v[105:106]
	v_add_f64 v[74:75], v[74:75], v[80:81]
	v_add_f64 v[80:81], v[90:91], v[70:71]
	v_fma_f64 v[105:106], v[78:79], s[10:11], v[101:102]
	v_fma_f64 v[78:79], v[78:79], s[6:7], v[101:102]
	v_add_f64 v[72:73], v[92:93], v[72:73]
	v_fma_f64 v[92:93], v[119:120], s[10:11], v[103:104]
	ds_write2_b64 v171, v[68:69], v[126:127] offset1:3
	ds_write_b64 v171, v[66:67] offset:48
	v_add_f64 v[66:67], v[139:140], v[90:91]
	ds_write2_b64 v107, v[74:75], v[105:106] offset1:3
	ds_write_b64 v107, v[78:79] offset:48
	ds_write2_b64 v121, v[72:73], v[92:93] offset1:3
	v_fma_f64 v[68:69], v[80:81], -0.5, v[139:140]
	v_add_f64 v[80:81], v[84:85], -v[86:87]
	v_add_f64 v[72:73], v[62:63], v[54:55]
	v_add_f64 v[66:67], v[66:67], v[70:71]
	;; [unrolled: 1-line block ×4, first 2 shown]
	v_add_f64 v[56:57], v[58:59], -v[56:57]
	v_add_f64 v[58:59], v[143:144], v[64:65]
	v_add_f64 v[60:61], v[60:61], -v[94:95]
	v_fma_f64 v[78:79], v[80:81], s[10:11], v[68:69]
	v_fma_f64 v[68:69], v[80:81], s[6:7], v[68:69]
	v_add_f64 v[80:81], v[88:89], v[133:134]
	v_fma_f64 v[72:73], v[72:73], -0.5, v[141:142]
	v_fma_f64 v[64:65], v[70:71], -0.5, v[143:144]
	v_add_f64 v[70:71], v[145:146], v[88:89]
	v_add_f64 v[82:83], v[82:83], -v[124:125]
	v_fma_f64 v[74:75], v[119:120], s[6:7], v[103:104]
	v_add_f64 v[54:55], v[62:63], v[54:55]
	v_add_f64 v[58:59], v[58:59], v[76:77]
	v_fma_f64 v[80:81], v[80:81], -0.5, v[145:146]
	v_fma_f64 v[62:63], v[56:57], s[10:11], v[72:73]
	v_fma_f64 v[56:57], v[56:57], s[6:7], v[72:73]
	;; [unrolled: 1-line block ×4, first 2 shown]
	v_add_f64 v[64:65], v[70:71], v[133:134]
	v_fma_f64 v[70:71], v[82:83], s[10:11], v[80:81]
	v_fma_f64 v[76:77], v[82:83], s[6:7], v[80:81]
	ds_write_b64 v121, v[74:75] offset:48
	ds_write2_b64 v131, v[66:67], v[78:79] offset1:3
	ds_write_b64 v131, v[68:69] offset:48
	ds_write2_b64 v149, v[54:55], v[62:63] offset1:3
	;; [unrolled: 2-line block ×4, first 2 shown]
	ds_write_b64 v173, v[76:77] offset:48
	v_mov_b32_e32 v66, 57
	v_mul_lo_u16_sdwa v54, v150, v66 dst_sel:DWORD dst_unused:UNUSED_PAD src0_sel:BYTE_0 src1_sel:DWORD
	v_lshrrev_b16_e32 v92, 9, v54
	v_mul_lo_u16_e32 v54, 9, v92
	v_sub_u16_e32 v93, v150, v54
	v_lshlrev_b32_sdwa v67, v100, v93 dst_sel:DWORD dst_unused:UNUSED_PAD src0_sel:DWORD src1_sel:BYTE_0
	s_waitcnt lgkmcnt(0)
	; wave barrier
	s_waitcnt lgkmcnt(0)
	global_load_dwordx4 v[54:57], v67, s[8:9] offset:96
	v_mul_lo_u16_sdwa v58, v152, v66 dst_sel:DWORD dst_unused:UNUSED_PAD src0_sel:BYTE_0 src1_sel:DWORD
	v_lshrrev_b16_e32 v89, 9, v58
	v_mul_lo_u16_e32 v58, 9, v89
	v_sub_u16_e32 v88, v152, v58
	v_lshlrev_b32_sdwa v68, v100, v88 dst_sel:DWORD dst_unused:UNUSED_PAD src0_sel:DWORD src1_sel:BYTE_0
	global_load_dwordx4 v[58:61], v68, s[8:9] offset:96
	global_load_dwordx4 v[62:65], v68, s[8:9] offset:112
	v_mul_lo_u16_sdwa v68, v153, v66 dst_sel:DWORD dst_unused:UNUSED_PAD src0_sel:BYTE_0 src1_sel:DWORD
	v_lshrrev_b16_e32 v91, 9, v68
	v_mul_lo_u16_e32 v68, 9, v91
	v_sub_u16_e32 v90, v153, v68
	v_mul_lo_u16_sdwa v66, v151, v66 dst_sel:DWORD dst_unused:UNUSED_PAD src0_sel:BYTE_0 src1_sel:DWORD
	v_lshlrev_b32_sdwa v76, v100, v90 dst_sel:DWORD dst_unused:UNUSED_PAD src0_sel:DWORD src1_sel:BYTE_0
	v_lshrrev_b16_e32 v95, 9, v66
	global_load_dwordx4 v[68:71], v76, s[8:9] offset:112
	global_load_dwordx4 v[72:75], v76, s[8:9] offset:96
	v_mul_lo_u16_e32 v66, 9, v95
	v_sub_u16_e32 v94, v151, v66
	v_lshlrev_b32_sdwa v66, v100, v94 dst_sel:DWORD dst_unused:UNUSED_PAD src0_sel:DWORD src1_sel:BYTE_0
	global_load_dwordx4 v[78:81], v66, s[8:9] offset:96
	global_load_dwordx4 v[82:85], v66, s[8:9] offset:112
	v_mul_u32_u24_sdwa v66, v108, s0 dst_sel:DWORD dst_unused:UNUSED_PAD src0_sel:WORD_0 src1_sel:DWORD
	v_lshrrev_b32_e32 v102, 19, v66
	v_mul_lo_u16_e32 v66, 9, v102
	v_sub_u16_e32 v101, v108, v66
	v_lshlrev_b32_e32 v66, 5, v101
	global_load_dwordx4 v[103:106], v66, s[8:9] offset:112
	global_load_dwordx4 v[124:127], v66, s[8:9] offset:96
	v_mul_u32_u24_sdwa v66, v110, s0 dst_sel:DWORD dst_unused:UNUSED_PAD src0_sel:WORD_0 src1_sel:DWORD
	v_lshrrev_b32_e32 v107, 19, v66
	v_mul_lo_u16_e32 v66, 9, v107
	v_sub_u16_e32 v121, v110, v66
	v_lshlrev_b32_e32 v66, 5, v121
	;; [unrolled: 7-line block ×5, first 2 shown]
	global_load_dwordx4 v[173:176], v67, s[8:9] offset:96
	global_load_dwordx4 v[177:180], v66, s[8:9] offset:112
	;; [unrolled: 1-line block ×3, first 2 shown]
	ds_read2_b64 v[181:184], v157 offset0:55 offset1:118
	ds_read2_b64 v[189:192], v158 offset0:173 offset1:236
	s_movk_i32 s0, 0x2f69
	s_waitcnt vmcnt(17) lgkmcnt(1)
	v_mul_f64 v[66:67], v[181:182], v[56:57]
	v_mul_f64 v[56:57], v[32:33], v[56:57]
	s_waitcnt vmcnt(16)
	v_mul_f64 v[76:77], v[183:184], v[60:61]
	v_mul_f64 v[60:61], v[34:35], v[60:61]
	v_fma_f64 v[119:120], v[32:33], v[54:55], -v[66:67]
	s_waitcnt vmcnt(15) lgkmcnt(0)
	v_mul_f64 v[32:33], v[189:190], v[64:65]
	v_mul_f64 v[64:65], v[28:29], v[64:65]
	v_fma_f64 v[128:129], v[181:182], v[54:55], v[56:57]
	ds_read2_b64 v[54:57], v157 offset0:181 offset1:244
	v_fma_f64 v[181:182], v[34:35], v[58:59], -v[76:77]
	v_fma_f64 v[183:184], v[183:184], v[58:59], v[60:61]
	s_waitcnt vmcnt(14)
	v_mul_f64 v[58:59], v[191:192], v[70:71]
	v_mul_f64 v[60:61], v[30:31], v[70:71]
	s_waitcnt vmcnt(13) lgkmcnt(0)
	v_mul_f64 v[70:71], v[54:55], v[74:75]
	v_fma_f64 v[193:194], v[28:29], v[62:63], -v[32:33]
	v_fma_f64 v[189:190], v[189:190], v[62:63], v[64:65]
	s_waitcnt vmcnt(12)
	v_mul_f64 v[62:63], v[56:57], v[80:81]
	ds_read2_b64 v[32:35], v159 offset0:43 offset1:106
	v_mul_f64 v[28:29], v[24:25], v[74:75]
	v_fma_f64 v[66:67], v[30:31], v[68:69], -v[58:59]
	v_fma_f64 v[68:69], v[191:192], v[68:69], v[60:61]
	v_mul_f64 v[30:31], v[26:27], v[80:81]
	s_waitcnt vmcnt(11) lgkmcnt(0)
	v_mul_f64 v[58:59], v[32:33], v[84:85]
	v_mul_f64 v[60:61], v[20:21], v[84:85]
	v_fma_f64 v[74:75], v[24:25], v[72:73], -v[70:71]
	v_fma_f64 v[76:77], v[26:27], v[78:79], -v[62:63]
	ds_read2_b64 v[24:27], v160 offset0:51 offset1:114
	v_fma_f64 v[191:192], v[54:55], v[72:73], v[28:29]
	s_waitcnt vmcnt(10)
	v_mul_f64 v[54:55], v[34:35], v[105:106]
	v_mul_f64 v[62:63], v[22:23], v[105:106]
	v_fma_f64 v[105:106], v[56:57], v[78:79], v[30:31]
	v_fma_f64 v[195:196], v[20:21], v[82:83], -v[58:59]
	v_fma_f64 v[78:79], v[32:33], v[82:83], v[60:61]
	s_waitcnt vmcnt(9) lgkmcnt(0)
	v_mul_f64 v[20:21], v[24:25], v[126:127]
	v_mul_f64 v[32:33], v[16:17], v[126:127]
	ds_read2_b64 v[28:31], v159 offset0:169 offset1:232
	v_fma_f64 v[126:127], v[22:23], v[103:104], -v[54:55]
	v_fma_f64 v[72:73], v[34:35], v[103:104], v[62:63]
	s_waitcnt vmcnt(8)
	v_mul_f64 v[34:35], v[26:27], v[135:136]
	v_mul_f64 v[54:55], v[18:19], v[135:136]
	s_waitcnt vmcnt(7) lgkmcnt(0)
	v_mul_f64 v[56:57], v[28:29], v[139:140]
	v_fma_f64 v[103:104], v[16:17], v[124:125], -v[20:21]
	v_fma_f64 v[124:125], v[24:25], v[124:125], v[32:33]
	s_waitcnt vmcnt(6)
	v_mul_f64 v[24:25], v[30:31], v[143:144]
	ds_read2_b64 v[20:23], v160 offset0:177 offset1:240
	v_mul_f64 v[16:17], v[12:13], v[139:140]
	v_fma_f64 v[82:83], v[18:19], v[133:134], -v[34:35]
	v_fma_f64 v[133:134], v[26:27], v[133:134], v[54:55]
	v_fma_f64 v[84:85], v[12:13], v[137:138], -v[56:57]
	s_waitcnt vmcnt(5) lgkmcnt(0)
	v_mul_f64 v[26:27], v[20:21], v[147:148]
	v_mul_f64 v[18:19], v[14:15], v[143:144]
	v_fma_f64 v[56:57], v[14:15], v[141:142], -v[24:25]
	ds_read2_b64 v[12:15], v158 offset0:47 offset1:110
	v_mul_f64 v[32:33], v[8:9], v[147:148]
	s_waitcnt vmcnt(4)
	v_mul_f64 v[24:25], v[22:23], v[167:168]
	v_fma_f64 v[70:71], v[28:29], v[137:138], v[16:17]
	v_mul_f64 v[28:29], v[10:11], v[167:168]
	v_fma_f64 v[58:59], v[8:9], v[145:146], -v[26:27]
	s_waitcnt vmcnt(3) lgkmcnt(0)
	v_mul_f64 v[8:9], v[14:15], v[171:172]
	v_fma_f64 v[54:55], v[30:31], v[141:142], v[18:19]
	ds_read2_b64 v[16:19], v118 offset0:39 offset1:102
	v_fma_f64 v[62:63], v[20:21], v[145:146], v[32:33]
	v_mul_f64 v[20:21], v[6:7], v[171:172]
	v_fma_f64 v[60:61], v[10:11], v[165:166], -v[24:25]
	s_waitcnt vmcnt(2)
	v_mul_f64 v[10:11], v[12:13], v[175:176]
	s_waitcnt vmcnt(1) lgkmcnt(0)
	v_mul_f64 v[24:25], v[16:17], v[179:180]
	v_fma_f64 v[6:7], v[6:7], v[169:170], -v[8:9]
	v_fma_f64 v[64:65], v[22:23], v[165:166], v[28:29]
	v_mul_f64 v[22:23], v[4:5], v[175:176]
	s_waitcnt vmcnt(0)
	v_mul_f64 v[26:27], v[2:3], v[187:188]
	v_fma_f64 v[8:9], v[14:15], v[169:170], v[20:21]
	v_mul_f64 v[20:21], v[18:19], v[187:188]
	v_mul_f64 v[14:15], v[0:1], v[179:180]
	v_fma_f64 v[80:81], v[4:5], v[173:174], -v[10:11]
	v_fma_f64 v[135:136], v[0:1], v[177:178], -v[24:25]
	v_add_f64 v[0:1], v[119:120], v[6:7]
	v_add_f64 v[4:5], v[52:53], v[119:120]
	v_fma_f64 v[86:87], v[12:13], v[173:174], v[22:23]
	v_add_f64 v[10:11], v[181:182], v[193:194]
	v_fma_f64 v[139:140], v[2:3], v[185:186], -v[20:21]
	v_mul_u32_u24_e32 v2, 0xd8, v92
	v_lshlrev_b32_sdwa v3, v164, v93 dst_sel:DWORD dst_unused:UNUSED_PAD src0_sel:DWORD src1_sel:BYTE_0
	v_add3_u32 v173, 0, v2, v3
	v_fma_f64 v[0:1], v[0:1], -0.5, v[52:53]
	v_add_f64 v[2:3], v[4:5], v[6:7]
	v_add_f64 v[4:5], v[128:129], -v[8:9]
	v_fma_f64 v[137:138], v[16:17], v[177:178], v[14:15]
	v_fma_f64 v[141:142], v[18:19], v[185:186], v[26:27]
	v_add_f64 v[18:19], v[183:184], -v[189:190]
	v_add_f64 v[20:21], v[74:75], v[66:67]
	ds_read_b64 v[12:13], v156
	ds_read_b64 v[14:15], v96
	;; [unrolled: 1-line block ×9, first 2 shown]
	s_waitcnt lgkmcnt(0)
	v_fma_f64 v[16:17], v[4:5], s[6:7], v[0:1]
	v_fma_f64 v[0:1], v[4:5], s[10:11], v[0:1]
	v_fma_f64 v[4:5], v[10:11], -0.5, v[50:51]
	v_add_f64 v[10:11], v[50:51], v[181:182]
	; wave barrier
	ds_write2_b64 v173, v[2:3], v[16:17] offset1:9
	ds_write_b64 v173, v[0:1] offset:144
	v_add_f64 v[16:17], v[48:49], v[74:75]
	v_fma_f64 v[2:3], v[18:19], s[6:7], v[4:5]
	v_add_f64 v[0:1], v[10:11], v[193:194]
	v_fma_f64 v[4:5], v[18:19], s[10:11], v[4:5]
	v_fma_f64 v[10:11], v[20:21], -0.5, v[48:49]
	v_add_f64 v[18:19], v[191:192], -v[68:69]
	v_add_f64 v[20:21], v[76:77], v[195:196]
	v_mul_u32_u24_e32 v22, 0xd8, v89
	v_lshlrev_b32_sdwa v23, v164, v88 dst_sel:DWORD dst_unused:UNUSED_PAD src0_sel:DWORD src1_sel:BYTE_0
	v_add3_u32 v174, 0, v22, v23
	ds_write2_b64 v174, v[0:1], v[2:3] offset1:9
	ds_write_b64 v174, v[4:5] offset:144
	v_add_f64 v[0:1], v[16:17], v[66:67]
	v_add_f64 v[16:17], v[46:47], v[76:77]
	v_fma_f64 v[2:3], v[18:19], s[6:7], v[10:11]
	v_fma_f64 v[4:5], v[18:19], s[10:11], v[10:11]
	v_fma_f64 v[10:11], v[20:21], -0.5, v[46:47]
	v_add_f64 v[18:19], v[105:106], -v[78:79]
	v_add_f64 v[20:21], v[103:104], v[126:127]
	v_mul_u32_u24_e32 v22, 0xd8, v91
	v_lshlrev_b32_sdwa v23, v164, v90 dst_sel:DWORD dst_unused:UNUSED_PAD src0_sel:DWORD src1_sel:BYTE_0
	v_add3_u32 v175, 0, v22, v23
	ds_write2_b64 v175, v[0:1], v[2:3] offset1:9
	ds_write_b64 v175, v[4:5] offset:144
	v_add_f64 v[0:1], v[16:17], v[195:196]
	v_add_f64 v[16:17], v[44:45], v[103:104]
	v_fma_f64 v[2:3], v[18:19], s[6:7], v[10:11]
	;; [unrolled: 12-line block ×3, first 2 shown]
	v_fma_f64 v[4:5], v[18:19], s[10:11], v[10:11]
	v_fma_f64 v[10:11], v[20:21], -0.5, v[42:43]
	v_add_f64 v[18:19], v[133:134], -v[70:71]
	v_add_f64 v[20:21], v[58:59], v[56:57]
	v_mul_u32_u24_e32 v22, 0xd8, v102
	v_lshlrev_b32_e32 v23, 3, v101
	v_add3_u32 v177, 0, v22, v23
	ds_write2_b64 v177, v[0:1], v[2:3] offset1:9
	ds_write_b64 v177, v[4:5] offset:144
	v_add_f64 v[0:1], v[16:17], v[84:85]
	v_add_f64 v[16:17], v[40:41], v[58:59]
	v_fma_f64 v[2:3], v[18:19], s[6:7], v[10:11]
	v_fma_f64 v[4:5], v[18:19], s[10:11], v[10:11]
	v_fma_f64 v[10:11], v[20:21], -0.5, v[40:41]
	v_add_f64 v[18:19], v[62:63], -v[54:55]
	v_add_f64 v[20:21], v[60:61], v[135:136]
	v_mul_u32_u24_e32 v22, 0xd8, v107
	v_lshlrev_b32_e32 v23, 3, v121
	v_add3_u32 v107, 0, v22, v23
	ds_write2_b64 v107, v[0:1], v[2:3] offset1:9
	ds_write_b64 v107, v[4:5] offset:144
	v_add_f64 v[0:1], v[16:17], v[56:57]
	v_add_f64 v[16:17], v[38:39], v[60:61]
	v_fma_f64 v[2:3], v[18:19], s[6:7], v[10:11]
	v_fma_f64 v[4:5], v[20:21], -0.5, v[38:39]
	v_add_f64 v[20:21], v[64:65], -v[137:138]
	v_add_f64 v[22:23], v[80:81], v[139:140]
	v_mul_u32_u24_e32 v24, 0xd8, v131
	v_lshlrev_b32_e32 v25, 3, v149
	v_fma_f64 v[10:11], v[18:19], s[10:11], v[10:11]
	v_add3_u32 v121, 0, v24, v25
	ds_write2_b64 v121, v[0:1], v[2:3] offset1:9
	v_add_f64 v[0:1], v[16:17], v[135:136]
	v_fma_f64 v[2:3], v[20:21], s[6:7], v[4:5]
	v_fma_f64 v[16:17], v[22:23], -0.5, v[36:37]
	v_add_f64 v[18:19], v[36:37], v[80:81]
	v_add_f64 v[22:23], v[86:87], -v[141:142]
	ds_write_b64 v121, v[10:11] offset:144
	v_mul_u32_u24_e32 v10, 0xd8, v197
	v_fma_f64 v[4:5], v[20:21], s[10:11], v[4:5]
	v_lshlrev_b32_e32 v11, 3, v198
	v_add3_u32 v131, 0, v10, v11
	ds_write2_b64 v131, v[0:1], v[2:3] offset1:9
	v_add_f64 v[0:1], v[18:19], v[139:140]
	v_fma_f64 v[2:3], v[22:23], s[6:7], v[16:17]
	v_add_f64 v[18:19], v[128:129], v[8:9]
	v_add_f64 v[10:11], v[12:13], v[128:129]
	ds_write_b64 v131, v[4:5] offset:144
	v_fma_f64 v[4:5], v[22:23], s[10:11], v[16:17]
	v_mul_u32_u24_e32 v16, 0xd8, v199
	v_lshlrev_b32_e32 v17, 3, v200
	v_add3_u32 v149, 0, v16, v17
	ds_write2_b64 v149, v[0:1], v[2:3] offset1:9
	v_add_f64 v[0:1], v[183:184], v[189:190]
	v_fma_f64 v[90:91], v[18:19], -0.5, v[12:13]
	v_add_f64 v[94:95], v[119:120], -v[6:7]
	v_add_f64 v[101:102], v[14:15], v[183:184]
	v_add_f64 v[128:129], v[181:182], -v[193:194]
	v_add_f64 v[88:89], v[10:11], v[8:9]
	ds_write_b64 v149, v[4:5] offset:144
	s_waitcnt lgkmcnt(0)
	v_fma_f64 v[119:120], v[0:1], -0.5, v[14:15]
	; wave barrier
	v_fma_f64 v[171:172], v[94:95], s[10:11], v[90:91]
	v_fma_f64 v[90:91], v[94:95], s[6:7], v[90:91]
	v_add_f64 v[94:95], v[101:102], v[189:190]
	ds_read_b64 v[52:53], v156
	ds_read_b64 v[50:51], v96
	;; [unrolled: 1-line block ×9, first 2 shown]
	ds_read2_b64 v[32:35], v157 offset0:55 offset1:118
	ds_read2_b64 v[4:7], v158 offset0:47 offset1:110
	;; [unrolled: 1-line block ×9, first 2 shown]
	v_fma_f64 v[101:102], v[128:129], s[10:11], v[119:120]
	v_fma_f64 v[119:120], v[128:129], s[6:7], v[119:120]
	v_add_f64 v[128:129], v[191:192], v[68:69]
	s_waitcnt lgkmcnt(0)
	; wave barrier
	s_waitcnt lgkmcnt(0)
	ds_write2_b64 v173, v[88:89], v[171:172] offset1:9
	v_add_f64 v[88:89], v[92:93], v[191:192]
	ds_write_b64 v173, v[90:91] offset:144
	v_add_f64 v[90:91], v[105:106], v[78:79]
	ds_write2_b64 v174, v[94:95], v[101:102] offset1:9
	ds_write_b64 v174, v[119:120] offset:144
	v_add_f64 v[94:95], v[124:125], v[72:73]
	v_fma_f64 v[92:93], v[128:129], -0.5, v[92:93]
	v_add_f64 v[66:67], v[74:75], -v[66:67]
	v_add_f64 v[74:75], v[143:144], v[105:106]
	v_add_f64 v[68:69], v[88:89], v[68:69]
	v_add_f64 v[76:77], v[76:77], -v[195:196]
	v_fma_f64 v[88:89], v[90:91], -0.5, v[143:144]
	v_add_f64 v[90:91], v[145:146], v[124:125]
	v_fma_f64 v[94:95], v[94:95], -0.5, v[145:146]
	v_add_f64 v[101:102], v[103:104], -v[126:127]
	v_fma_f64 v[103:104], v[66:67], s[10:11], v[92:93]
	v_fma_f64 v[66:67], v[66:67], s[6:7], v[92:93]
	v_add_f64 v[74:75], v[74:75], v[78:79]
	v_add_f64 v[78:79], v[133:134], v[70:71]
	v_fma_f64 v[92:93], v[76:77], s[10:11], v[88:89]
	v_fma_f64 v[76:77], v[76:77], s[6:7], v[88:89]
	v_add_f64 v[72:73], v[90:91], v[72:73]
	v_fma_f64 v[88:89], v[101:102], s[10:11], v[94:95]
	ds_write2_b64 v175, v[68:69], v[103:104] offset1:9
	ds_write_b64 v175, v[66:67] offset:144
	v_add_f64 v[66:67], v[147:148], v[133:134]
	ds_write2_b64 v176, v[74:75], v[92:93] offset1:9
	ds_write_b64 v176, v[76:77] offset:144
	ds_write2_b64 v177, v[72:73], v[88:89] offset1:9
	v_fma_f64 v[68:69], v[78:79], -0.5, v[147:148]
	v_add_f64 v[78:79], v[82:83], -v[84:85]
	v_add_f64 v[72:73], v[62:63], v[54:55]
	v_add_f64 v[66:67], v[66:67], v[70:71]
	v_add_f64 v[70:71], v[64:65], v[137:138]
	v_add_f64 v[62:63], v[165:166], v[62:63]
	v_add_f64 v[56:57], v[58:59], -v[56:57]
	v_add_f64 v[58:59], v[167:168], v[64:65]
	v_add_f64 v[60:61], v[60:61], -v[135:136]
	v_fma_f64 v[76:77], v[78:79], s[10:11], v[68:69]
	v_fma_f64 v[68:69], v[78:79], s[6:7], v[68:69]
	v_add_f64 v[78:79], v[86:87], v[141:142]
	v_fma_f64 v[72:73], v[72:73], -0.5, v[165:166]
	v_fma_f64 v[64:65], v[70:71], -0.5, v[167:168]
	v_add_f64 v[70:71], v[169:170], v[86:87]
	v_add_f64 v[80:81], v[80:81], -v[139:140]
	v_fma_f64 v[74:75], v[101:102], s[6:7], v[94:95]
	v_add_f64 v[54:55], v[62:63], v[54:55]
	v_add_f64 v[58:59], v[58:59], v[137:138]
	v_fma_f64 v[78:79], v[78:79], -0.5, v[169:170]
	v_fma_f64 v[62:63], v[56:57], s[10:11], v[72:73]
	v_fma_f64 v[56:57], v[56:57], s[6:7], v[72:73]
	;; [unrolled: 1-line block ×4, first 2 shown]
	v_add_f64 v[64:65], v[70:71], v[141:142]
	v_fma_f64 v[70:71], v[80:81], s[10:11], v[78:79]
	v_fma_f64 v[78:79], v[80:81], s[6:7], v[78:79]
	ds_write_b64 v177, v[74:75] offset:144
	ds_write2_b64 v107, v[66:67], v[76:77] offset1:9
	ds_write_b64 v107, v[68:69] offset:144
	ds_write2_b64 v121, v[54:55], v[62:63] offset1:9
	;; [unrolled: 2-line block ×4, first 2 shown]
	ds_write_b64 v149, v[78:79] offset:144
	v_mov_b32_e32 v66, 19
	v_mul_lo_u16_sdwa v54, v150, v66 dst_sel:DWORD dst_unused:UNUSED_PAD src0_sel:BYTE_0 src1_sel:DWORD
	v_lshrrev_b16_e32 v92, 9, v54
	v_mul_lo_u16_e32 v54, 27, v92
	v_sub_u16_e32 v93, v150, v54
	v_lshlrev_b32_sdwa v67, v100, v93 dst_sel:DWORD dst_unused:UNUSED_PAD src0_sel:DWORD src1_sel:BYTE_0
	s_waitcnt lgkmcnt(0)
	; wave barrier
	s_waitcnt lgkmcnt(0)
	global_load_dwordx4 v[54:57], v67, s[8:9] offset:384
	v_mul_lo_u16_sdwa v58, v152, v66 dst_sel:DWORD dst_unused:UNUSED_PAD src0_sel:BYTE_0 src1_sel:DWORD
	v_lshrrev_b16_e32 v89, 9, v58
	v_mul_lo_u16_e32 v58, 27, v89
	v_sub_u16_e32 v88, v152, v58
	v_lshlrev_b32_sdwa v68, v100, v88 dst_sel:DWORD dst_unused:UNUSED_PAD src0_sel:DWORD src1_sel:BYTE_0
	global_load_dwordx4 v[58:61], v68, s[8:9] offset:384
	global_load_dwordx4 v[62:65], v68, s[8:9] offset:400
	v_mul_lo_u16_sdwa v68, v153, v66 dst_sel:DWORD dst_unused:UNUSED_PAD src0_sel:BYTE_0 src1_sel:DWORD
	v_mul_lo_u16_sdwa v66, v151, v66 dst_sel:DWORD dst_unused:UNUSED_PAD src0_sel:BYTE_0 src1_sel:DWORD
	v_lshrrev_b16_e32 v91, 9, v68
	v_lshrrev_b16_e32 v95, 9, v66
	v_mul_lo_u16_e32 v68, 27, v91
	v_mul_lo_u16_e32 v66, 27, v95
	v_sub_u16_e32 v90, v153, v68
	v_sub_u16_e32 v94, v151, v66
	v_lshlrev_b32_sdwa v76, v100, v90 dst_sel:DWORD dst_unused:UNUSED_PAD src0_sel:DWORD src1_sel:BYTE_0
	v_lshlrev_b32_sdwa v66, v100, v94 dst_sel:DWORD dst_unused:UNUSED_PAD src0_sel:DWORD src1_sel:BYTE_0
	global_load_dwordx4 v[68:71], v76, s[8:9] offset:400
	global_load_dwordx4 v[72:75], v76, s[8:9] offset:384
	global_load_dwordx4 v[78:81], v66, s[8:9] offset:384
	global_load_dwordx4 v[82:85], v66, s[8:9] offset:400
	v_mul_u32_u24_sdwa v66, v108, s0 dst_sel:DWORD dst_unused:UNUSED_PAD src0_sel:WORD_0 src1_sel:DWORD
	v_sub_u16_sdwa v76, v108, v66 dst_sel:DWORD dst_unused:UNUSED_PAD src0_sel:DWORD src1_sel:WORD_1
	v_lshrrev_b16_e32 v76, 1, v76
	v_add_u16_sdwa v66, v76, v66 dst_sel:DWORD dst_unused:UNUSED_PAD src0_sel:DWORD src1_sel:WORD_1
	v_lshrrev_b16_e32 v102, 4, v66
	v_mul_lo_u16_e32 v66, 27, v102
	v_sub_u16_e32 v101, v108, v66
	v_lshlrev_b32_e32 v66, 5, v101
	global_load_dwordx4 v[124:127], v66, s[8:9] offset:400
	global_load_dwordx4 v[133:136], v66, s[8:9] offset:384
	v_mul_u32_u24_sdwa v66, v110, s0 dst_sel:DWORD dst_unused:UNUSED_PAD src0_sel:WORD_0 src1_sel:DWORD
	v_sub_u16_sdwa v76, v110, v66 dst_sel:DWORD dst_unused:UNUSED_PAD src0_sel:DWORD src1_sel:WORD_1
	v_lshrrev_b16_e32 v76, 1, v76
	v_add_u16_sdwa v66, v76, v66 dst_sel:DWORD dst_unused:UNUSED_PAD src0_sel:DWORD src1_sel:WORD_1
	v_lshrrev_b16_e32 v103, 4, v66
	v_mul_lo_u16_e32 v66, 27, v103
	v_sub_u16_e32 v104, v110, v66
	v_lshlrev_b32_e32 v66, 5, v104
	global_load_dwordx4 v[137:140], v66, s[8:9] offset:384
	global_load_dwordx4 v[141:144], v66, s[8:9] offset:400
	;; [unrolled: 10-line block ×5, first 2 shown]
	global_load_dwordx4 v[189:192], v67, s[8:9] offset:400
	ds_read2_b64 v[185:188], v157 offset0:55 offset1:118
	ds_read2_b64 v[193:196], v158 offset0:173 offset1:236
	s_waitcnt vmcnt(17) lgkmcnt(1)
	v_mul_f64 v[66:67], v[185:186], v[56:57]
	v_mul_f64 v[56:57], v[32:33], v[56:57]
	s_waitcnt vmcnt(16)
	v_mul_f64 v[76:77], v[187:188], v[60:61]
	v_mul_f64 v[60:61], v[34:35], v[60:61]
	v_fma_f64 v[105:106], v[32:33], v[54:55], -v[66:67]
	s_waitcnt vmcnt(15) lgkmcnt(0)
	v_mul_f64 v[32:33], v[193:194], v[64:65]
	v_mul_f64 v[64:65], v[28:29], v[64:65]
	v_fma_f64 v[119:120], v[185:186], v[54:55], v[56:57]
	ds_read2_b64 v[54:57], v157 offset0:181 offset1:244
	v_fma_f64 v[128:129], v[34:35], v[58:59], -v[76:77]
	v_fma_f64 v[185:186], v[187:188], v[58:59], v[60:61]
	s_waitcnt vmcnt(14)
	v_mul_f64 v[58:59], v[195:196], v[70:71]
	v_mul_f64 v[60:61], v[30:31], v[70:71]
	s_waitcnt vmcnt(13) lgkmcnt(0)
	v_mul_f64 v[70:71], v[54:55], v[74:75]
	v_fma_f64 v[187:188], v[28:29], v[62:63], -v[32:33]
	v_fma_f64 v[193:194], v[193:194], v[62:63], v[64:65]
	s_waitcnt vmcnt(12)
	v_mul_f64 v[62:63], v[56:57], v[80:81]
	ds_read2_b64 v[32:35], v159 offset0:43 offset1:106
	v_mul_f64 v[28:29], v[24:25], v[74:75]
	v_fma_f64 v[66:67], v[30:31], v[68:69], -v[58:59]
	v_fma_f64 v[68:69], v[195:196], v[68:69], v[60:61]
	v_mul_f64 v[30:31], v[26:27], v[80:81]
	s_waitcnt vmcnt(11) lgkmcnt(0)
	v_mul_f64 v[58:59], v[32:33], v[84:85]
	v_mul_f64 v[60:61], v[20:21], v[84:85]
	v_fma_f64 v[74:75], v[24:25], v[72:73], -v[70:71]
	v_fma_f64 v[76:77], v[26:27], v[78:79], -v[62:63]
	ds_read2_b64 v[24:27], v160 offset0:51 offset1:114
	v_fma_f64 v[195:196], v[54:55], v[72:73], v[28:29]
	s_waitcnt vmcnt(10)
	v_mul_f64 v[54:55], v[34:35], v[126:127]
	v_mul_f64 v[62:63], v[22:23], v[126:127]
	v_fma_f64 v[126:127], v[56:57], v[78:79], v[30:31]
	v_fma_f64 v[197:198], v[20:21], v[82:83], -v[58:59]
	v_fma_f64 v[78:79], v[32:33], v[82:83], v[60:61]
	s_waitcnt vmcnt(9) lgkmcnt(0)
	v_mul_f64 v[20:21], v[24:25], v[135:136]
	v_mul_f64 v[32:33], v[16:17], v[135:136]
	ds_read2_b64 v[28:31], v159 offset0:169 offset1:232
	v_fma_f64 v[135:136], v[22:23], v[124:125], -v[54:55]
	v_fma_f64 v[72:73], v[34:35], v[124:125], v[62:63]
	s_waitcnt vmcnt(8)
	v_mul_f64 v[34:35], v[26:27], v[139:140]
	v_mul_f64 v[54:55], v[18:19], v[139:140]
	s_waitcnt vmcnt(7) lgkmcnt(0)
	v_mul_f64 v[56:57], v[28:29], v[143:144]
	v_fma_f64 v[124:125], v[16:17], v[133:134], -v[20:21]
	v_fma_f64 v[133:134], v[24:25], v[133:134], v[32:33]
	s_waitcnt vmcnt(6)
	v_mul_f64 v[24:25], v[30:31], v[147:148]
	ds_read2_b64 v[20:23], v160 offset0:177 offset1:240
	v_mul_f64 v[16:17], v[12:13], v[143:144]
	v_fma_f64 v[82:83], v[18:19], v[137:138], -v[34:35]
	v_fma_f64 v[137:138], v[26:27], v[137:138], v[54:55]
	v_fma_f64 v[84:85], v[12:13], v[141:142], -v[56:57]
	s_waitcnt vmcnt(5) lgkmcnt(0)
	v_mul_f64 v[26:27], v[20:21], v[167:168]
	v_mul_f64 v[18:19], v[14:15], v[147:148]
	v_fma_f64 v[56:57], v[14:15], v[145:146], -v[24:25]
	ds_read2_b64 v[12:15], v158 offset0:47 offset1:110
	v_mul_f64 v[32:33], v[8:9], v[167:168]
	s_waitcnt vmcnt(4)
	v_mul_f64 v[24:25], v[22:23], v[171:172]
	v_fma_f64 v[70:71], v[28:29], v[141:142], v[16:17]
	v_mul_f64 v[28:29], v[10:11], v[171:172]
	v_fma_f64 v[58:59], v[8:9], v[165:166], -v[26:27]
	s_waitcnt vmcnt(3) lgkmcnt(0)
	v_mul_f64 v[8:9], v[14:15], v[175:176]
	v_fma_f64 v[54:55], v[30:31], v[145:146], v[18:19]
	ds_read2_b64 v[16:19], v118 offset0:39 offset1:102
	v_fma_f64 v[62:63], v[20:21], v[165:166], v[32:33]
	v_mul_f64 v[20:21], v[6:7], v[175:176]
	v_fma_f64 v[60:61], v[10:11], v[169:170], -v[24:25]
	s_waitcnt vmcnt(2)
	v_mul_f64 v[10:11], v[12:13], v[179:180]
	s_waitcnt vmcnt(1) lgkmcnt(0)
	v_mul_f64 v[24:25], v[16:17], v[183:184]
	v_fma_f64 v[6:7], v[6:7], v[173:174], -v[8:9]
	v_fma_f64 v[64:65], v[22:23], v[169:170], v[28:29]
	v_mul_f64 v[22:23], v[4:5], v[179:180]
	s_waitcnt vmcnt(0)
	v_mul_f64 v[26:27], v[2:3], v[191:192]
	v_fma_f64 v[8:9], v[14:15], v[173:174], v[20:21]
	v_mul_f64 v[20:21], v[18:19], v[191:192]
	v_mul_f64 v[14:15], v[0:1], v[183:184]
	v_fma_f64 v[80:81], v[4:5], v[177:178], -v[10:11]
	v_fma_f64 v[139:140], v[0:1], v[181:182], -v[24:25]
	v_add_f64 v[0:1], v[105:106], v[6:7]
	v_add_f64 v[4:5], v[52:53], v[105:106]
	;; [unrolled: 1-line block ×3, first 2 shown]
	v_fma_f64 v[145:146], v[18:19], v[189:190], v[26:27]
	v_fma_f64 v[143:144], v[2:3], v[189:190], -v[20:21]
	v_mul_u32_u24_e32 v2, 0x288, v92
	v_lshlrev_b32_sdwa v3, v164, v93 dst_sel:DWORD dst_unused:UNUSED_PAD src0_sel:DWORD src1_sel:BYTE_0
	v_add3_u32 v175, 0, v2, v3
	v_fma_f64 v[0:1], v[0:1], -0.5, v[52:53]
	v_add_f64 v[2:3], v[4:5], v[6:7]
	v_add_f64 v[4:5], v[119:120], -v[8:9]
	v_fma_f64 v[141:142], v[16:17], v[181:182], v[14:15]
	v_add_f64 v[18:19], v[185:186], -v[193:194]
	v_add_f64 v[20:21], v[74:75], v[66:67]
	v_fma_f64 v[86:87], v[12:13], v[177:178], v[22:23]
	ds_read_b64 v[12:13], v156
	ds_read_b64 v[14:15], v96
	;; [unrolled: 1-line block ×9, first 2 shown]
	s_waitcnt lgkmcnt(0)
	v_fma_f64 v[16:17], v[4:5], s[6:7], v[0:1]
	v_fma_f64 v[0:1], v[4:5], s[10:11], v[0:1]
	v_fma_f64 v[4:5], v[10:11], -0.5, v[50:51]
	v_add_f64 v[10:11], v[50:51], v[128:129]
	; wave barrier
	ds_write2_b64 v175, v[2:3], v[16:17] offset1:27
	ds_write_b64 v175, v[0:1] offset:432
	v_add_f64 v[16:17], v[48:49], v[74:75]
	v_fma_f64 v[2:3], v[18:19], s[6:7], v[4:5]
	v_add_f64 v[0:1], v[10:11], v[187:188]
	v_fma_f64 v[4:5], v[18:19], s[10:11], v[4:5]
	v_fma_f64 v[10:11], v[20:21], -0.5, v[48:49]
	v_add_f64 v[18:19], v[195:196], -v[68:69]
	v_add_f64 v[20:21], v[76:77], v[197:198]
	v_mul_u32_u24_e32 v22, 0x288, v89
	v_lshlrev_b32_sdwa v23, v164, v88 dst_sel:DWORD dst_unused:UNUSED_PAD src0_sel:DWORD src1_sel:BYTE_0
	v_add3_u32 v176, 0, v22, v23
	ds_write2_b64 v176, v[0:1], v[2:3] offset1:27
	ds_write_b64 v176, v[4:5] offset:432
	v_add_f64 v[0:1], v[16:17], v[66:67]
	v_add_f64 v[16:17], v[46:47], v[76:77]
	v_fma_f64 v[2:3], v[18:19], s[6:7], v[10:11]
	v_fma_f64 v[4:5], v[18:19], s[10:11], v[10:11]
	v_fma_f64 v[10:11], v[20:21], -0.5, v[46:47]
	v_add_f64 v[18:19], v[126:127], -v[78:79]
	v_add_f64 v[20:21], v[124:125], v[135:136]
	v_mul_u32_u24_e32 v22, 0x288, v91
	v_lshlrev_b32_sdwa v23, v164, v90 dst_sel:DWORD dst_unused:UNUSED_PAD src0_sel:DWORD src1_sel:BYTE_0
	v_add3_u32 v177, 0, v22, v23
	ds_write2_b64 v177, v[0:1], v[2:3] offset1:27
	ds_write_b64 v177, v[4:5] offset:432
	v_add_f64 v[0:1], v[16:17], v[197:198]
	v_add_f64 v[16:17], v[44:45], v[124:125]
	v_fma_f64 v[2:3], v[18:19], s[6:7], v[10:11]
	;; [unrolled: 12-line block ×3, first 2 shown]
	v_fma_f64 v[4:5], v[18:19], s[10:11], v[10:11]
	v_fma_f64 v[10:11], v[20:21], -0.5, v[42:43]
	v_add_f64 v[18:19], v[137:138], -v[70:71]
	v_add_f64 v[20:21], v[58:59], v[56:57]
	v_mul_u32_u24_e32 v22, 0x288, v102
	v_lshlrev_b32_e32 v23, 3, v101
	v_add3_u32 v179, 0, v22, v23
	ds_write2_b64 v179, v[0:1], v[2:3] offset1:27
	ds_write_b64 v179, v[4:5] offset:432
	v_add_f64 v[0:1], v[16:17], v[84:85]
	v_add_f64 v[16:17], v[40:41], v[58:59]
	v_fma_f64 v[2:3], v[18:19], s[6:7], v[10:11]
	v_fma_f64 v[4:5], v[18:19], s[10:11], v[10:11]
	v_fma_f64 v[10:11], v[20:21], -0.5, v[40:41]
	v_add_f64 v[18:19], v[62:63], -v[54:55]
	v_add_f64 v[20:21], v[60:61], v[139:140]
	v_mul_u32_u24_e32 v22, 0x288, v103
	v_lshlrev_b32_e32 v23, 3, v104
	v_add3_u32 v180, 0, v22, v23
	ds_write2_b64 v180, v[0:1], v[2:3] offset1:27
	ds_write_b64 v180, v[4:5] offset:432
	v_add_f64 v[0:1], v[16:17], v[56:57]
	v_add_f64 v[16:17], v[38:39], v[60:61]
	v_fma_f64 v[2:3], v[18:19], s[6:7], v[10:11]
	v_fma_f64 v[4:5], v[20:21], -0.5, v[38:39]
	v_add_f64 v[20:21], v[64:65], -v[141:142]
	v_add_f64 v[22:23], v[80:81], v[143:144]
	v_mul_u32_u24_e32 v24, 0x288, v107
	v_lshlrev_b32_e32 v25, 3, v121
	v_fma_f64 v[10:11], v[18:19], s[10:11], v[10:11]
	v_add3_u32 v107, 0, v24, v25
	ds_write2_b64 v107, v[0:1], v[2:3] offset1:27
	v_add_f64 v[0:1], v[16:17], v[139:140]
	v_fma_f64 v[2:3], v[20:21], s[6:7], v[4:5]
	v_fma_f64 v[16:17], v[22:23], -0.5, v[36:37]
	v_add_f64 v[22:23], v[86:87], -v[145:146]
	v_fma_f64 v[4:5], v[20:21], s[10:11], v[4:5]
	v_add_f64 v[18:19], v[36:37], v[80:81]
	ds_write_b64 v107, v[10:11] offset:432
	v_mul_u32_u24_e32 v10, 0x288, v131
	v_lshlrev_b32_e32 v11, 3, v149
	v_add3_u32 v121, 0, v10, v11
	ds_write2_b64 v121, v[0:1], v[2:3] offset1:27
	v_fma_f64 v[2:3], v[22:23], s[6:7], v[16:17]
	ds_write_b64 v121, v[4:5] offset:432
	v_fma_f64 v[4:5], v[22:23], s[10:11], v[16:17]
	v_add_f64 v[0:1], v[18:19], v[143:144]
	v_add_f64 v[18:19], v[119:120], v[8:9]
	v_mul_u32_u24_e32 v16, 0x288, v199
	v_lshlrev_b32_e32 v17, 3, v200
	v_add3_u32 v131, 0, v16, v17
	v_add_f64 v[10:11], v[12:13], v[119:120]
	v_add_f64 v[94:95], v[105:106], -v[6:7]
	ds_write_b64 v131, v[4:5] offset:432
	v_add_f64 v[4:5], v[185:186], v[193:194]
	v_fma_f64 v[90:91], v[18:19], -0.5, v[12:13]
	v_add_f64 v[101:102], v[14:15], v[185:186]
	v_add_f64 v[105:106], v[128:129], -v[187:188]
	ds_write2_b64 v131, v[0:1], v[2:3] offset1:27
	v_add_f64 v[88:89], v[10:11], v[8:9]
	s_waitcnt lgkmcnt(0)
	; wave barrier
	s_waitcnt lgkmcnt(0)
	v_fma_f64 v[103:104], v[4:5], -0.5, v[14:15]
	v_fma_f64 v[119:120], v[94:95], s[10:11], v[90:91]
	v_fma_f64 v[90:91], v[94:95], s[6:7], v[90:91]
	v_add_f64 v[94:95], v[101:102], v[193:194]
	ds_read_b64 v[52:53], v156
	ds_read_b64 v[50:51], v96
	;; [unrolled: 1-line block ×9, first 2 shown]
	ds_read2_b64 v[32:35], v157 offset0:55 offset1:118
	ds_read2_b64 v[0:3], v158 offset0:47 offset1:110
	;; [unrolled: 1-line block ×9, first 2 shown]
	s_waitcnt lgkmcnt(0)
	v_fma_f64 v[101:102], v[105:106], s[10:11], v[103:104]
	v_fma_f64 v[103:104], v[105:106], s[6:7], v[103:104]
	v_add_f64 v[105:106], v[195:196], v[68:69]
	; wave barrier
	ds_write2_b64 v175, v[88:89], v[119:120] offset1:27
	v_add_f64 v[88:89], v[92:93], v[195:196]
	ds_write_b64 v175, v[90:91] offset:432
	v_add_f64 v[90:91], v[126:127], v[78:79]
	ds_write2_b64 v176, v[94:95], v[101:102] offset1:27
	ds_write_b64 v176, v[103:104] offset:432
	v_add_f64 v[94:95], v[133:134], v[72:73]
	v_fma_f64 v[92:93], v[105:106], -0.5, v[92:93]
	v_add_f64 v[66:67], v[74:75], -v[66:67]
	v_add_f64 v[74:75], v[147:148], v[126:127]
	v_add_f64 v[68:69], v[88:89], v[68:69]
	v_add_f64 v[76:77], v[76:77], -v[197:198]
	v_fma_f64 v[88:89], v[90:91], -0.5, v[147:148]
	v_add_f64 v[90:91], v[165:166], v[133:134]
	v_fma_f64 v[94:95], v[94:95], -0.5, v[165:166]
	v_add_f64 v[101:102], v[124:125], -v[135:136]
	v_fma_f64 v[103:104], v[66:67], s[10:11], v[92:93]
	v_fma_f64 v[66:67], v[66:67], s[6:7], v[92:93]
	v_add_f64 v[74:75], v[74:75], v[78:79]
	v_add_f64 v[78:79], v[137:138], v[70:71]
	v_fma_f64 v[92:93], v[76:77], s[10:11], v[88:89]
	v_fma_f64 v[76:77], v[76:77], s[6:7], v[88:89]
	v_add_f64 v[72:73], v[90:91], v[72:73]
	v_fma_f64 v[88:89], v[101:102], s[10:11], v[94:95]
	ds_write2_b64 v177, v[68:69], v[103:104] offset1:27
	ds_write_b64 v177, v[66:67] offset:432
	v_add_f64 v[66:67], v[167:168], v[137:138]
	ds_write2_b64 v178, v[74:75], v[92:93] offset1:27
	ds_write_b64 v178, v[76:77] offset:432
	ds_write2_b64 v179, v[72:73], v[88:89] offset1:27
	v_fma_f64 v[68:69], v[78:79], -0.5, v[167:168]
	v_add_f64 v[78:79], v[82:83], -v[84:85]
	v_add_f64 v[72:73], v[62:63], v[54:55]
	v_add_f64 v[66:67], v[66:67], v[70:71]
	;; [unrolled: 1-line block ×4, first 2 shown]
	v_add_f64 v[56:57], v[58:59], -v[56:57]
	v_add_f64 v[58:59], v[171:172], v[64:65]
	v_add_f64 v[60:61], v[60:61], -v[139:140]
	v_fma_f64 v[76:77], v[78:79], s[10:11], v[68:69]
	v_fma_f64 v[68:69], v[78:79], s[6:7], v[68:69]
	v_add_f64 v[78:79], v[86:87], v[145:146]
	v_fma_f64 v[72:73], v[72:73], -0.5, v[169:170]
	v_fma_f64 v[64:65], v[70:71], -0.5, v[171:172]
	v_add_f64 v[70:71], v[173:174], v[86:87]
	v_add_f64 v[80:81], v[80:81], -v[143:144]
	v_fma_f64 v[74:75], v[101:102], s[6:7], v[94:95]
	v_add_f64 v[54:55], v[62:63], v[54:55]
	v_add_f64 v[58:59], v[58:59], v[141:142]
	v_fma_f64 v[78:79], v[78:79], -0.5, v[173:174]
	v_fma_f64 v[62:63], v[56:57], s[10:11], v[72:73]
	v_fma_f64 v[56:57], v[56:57], s[6:7], v[72:73]
	v_fma_f64 v[72:73], v[60:61], s[10:11], v[64:65]
	v_fma_f64 v[60:61], v[60:61], s[6:7], v[64:65]
	v_add_f64 v[64:65], v[70:71], v[145:146]
	v_fma_f64 v[70:71], v[80:81], s[10:11], v[78:79]
	v_fma_f64 v[78:79], v[80:81], s[6:7], v[78:79]
	ds_write_b64 v179, v[74:75] offset:432
	ds_write2_b64 v180, v[66:67], v[76:77] offset1:27
	ds_write_b64 v180, v[68:69] offset:432
	ds_write2_b64 v107, v[54:55], v[62:63] offset1:27
	;; [unrolled: 2-line block ×4, first 2 shown]
	ds_write_b64 v131, v[78:79] offset:432
	v_lshlrev_b32_e32 v58, 1, v150
	v_mov_b32_e32 v59, 0
	v_lshlrev_b64 v[54:55], 4, v[58:59]
	v_mov_b32_e32 v60, s9
	v_add_co_u32_e64 v66, s[0:1], s8, v54
	v_addc_co_u32_e64 v67, s[0:1], v60, v55, s[0:1]
	v_subrev_u32_e32 v58, 18, v150
	v_cmp_gt_u32_e64 s[0:1], 18, v150
	s_waitcnt lgkmcnt(0)
	; wave barrier
	s_waitcnt lgkmcnt(0)
	global_load_dwordx4 v[54:57], v[66:67], off offset:1248
	v_cndmask_b32_e64 v68, v58, v152, s[0:1]
	v_lshlrev_b32_e32 v58, 1, v68
	v_lshlrev_b64 v[58:59], 4, v[58:59]
	v_add_co_u32_e64 v69, s[0:1], s8, v58
	v_addc_co_u32_e64 v70, s[0:1], v60, v59, s[0:1]
	s_movk_i32 s0, 0xcb
	global_load_dwordx4 v[58:61], v[69:70], off offset:1248
	global_load_dwordx4 v[62:65], v[69:70], off offset:1264
	v_mul_lo_u16_sdwa v69, v153, s0 dst_sel:DWORD dst_unused:UNUSED_PAD src0_sel:BYTE_0 src1_sel:DWORD
	v_lshrrev_b16_e32 v69, 14, v69
	v_mul_lo_u16_e32 v70, 0x51, v69
	v_sub_u16_e32 v70, v153, v70
	v_lshlrev_b32_sdwa v71, v100, v70 dst_sel:DWORD dst_unused:UNUSED_PAD src0_sel:DWORD src1_sel:BYTE_0
	global_load_dwordx4 v[72:75], v71, s[8:9] offset:1264
	global_load_dwordx4 v[78:81], v71, s[8:9] offset:1248
	v_mul_lo_u16_sdwa v71, v151, s0 dst_sel:DWORD dst_unused:UNUSED_PAD src0_sel:BYTE_0 src1_sel:DWORD
	v_lshrrev_b16_e32 v71, 14, v71
	v_mul_lo_u16_e32 v76, 0x51, v71
	v_sub_u16_e32 v193, v151, v76
	v_lshlrev_b32_sdwa v76, v100, v193 dst_sel:DWORD dst_unused:UNUSED_PAD src0_sel:DWORD src1_sel:BYTE_0
	global_load_dwordx4 v[82:85], v76, s[8:9] offset:1248
	global_load_dwordx4 v[92:95], v76, s[8:9] offset:1264
	s_movk_i32 s0, 0x6523
	v_mul_u32_u24_sdwa v76, v108, s0 dst_sel:DWORD dst_unused:UNUSED_PAD src0_sel:WORD_0 src1_sel:DWORD
	v_lshrrev_b32_e32 v76, 21, v76
	v_mul_lo_u16_e32 v76, 0x51, v76
	v_sub_u16_e32 v194, v108, v76
	v_lshlrev_b32_e32 v76, 5, v194
	global_load_dwordx4 v[124:127], v76, s[8:9] offset:1264
	global_load_dwordx4 v[133:136], v76, s[8:9] offset:1248
	v_mul_u32_u24_sdwa v76, v110, s0 dst_sel:DWORD dst_unused:UNUSED_PAD src0_sel:WORD_0 src1_sel:DWORD
	v_lshrrev_b32_e32 v195, 21, v76
	v_mul_lo_u16_e32 v76, 0x51, v195
	v_sub_u16_e32 v196, v110, v76
	v_lshlrev_b32_e32 v76, 5, v196
	global_load_dwordx4 v[137:140], v76, s[8:9] offset:1248
	global_load_dwordx4 v[141:144], v76, s[8:9] offset:1264
	v_mul_u32_u24_sdwa v77, v111, s0 dst_sel:DWORD dst_unused:UNUSED_PAD src0_sel:WORD_0 src1_sel:DWORD
	v_lshrrev_b32_e32 v198, 21, v77
	v_mul_lo_u16_e32 v77, 0x51, v198
	v_sub_u16_e32 v199, v111, v77
	v_mul_u32_u24_sdwa v76, v109, s0 dst_sel:DWORD dst_unused:UNUSED_PAD src0_sel:WORD_0 src1_sel:DWORD
	v_lshlrev_b32_e32 v77, 5, v199
	v_lshrrev_b32_e32 v197, 21, v76
	global_load_dwordx4 v[145:148], v77, s[8:9] offset:1248
	v_mul_lo_u16_e32 v76, 0x51, v197
	v_sub_u16_e32 v200, v109, v76
	v_lshlrev_b32_e32 v76, 5, v200
	global_load_dwordx4 v[165:168], v77, s[8:9] offset:1264
	global_load_dwordx4 v[169:172], v76, s[8:9] offset:1264
	;; [unrolled: 1-line block ×3, first 2 shown]
	global_load_dwordx4 v[177:180], v[66:67], off offset:1264
	v_mul_u32_u24_sdwa v66, v116, s0 dst_sel:DWORD dst_unused:UNUSED_PAD src0_sel:WORD_0 src1_sel:DWORD
	v_lshrrev_b32_e32 v66, 21, v66
	v_mul_lo_u16_e32 v66, 0x51, v66
	v_sub_u16_e32 v201, v116, v66
	v_lshlrev_b32_e32 v66, 5, v201
	ds_read2_b64 v[102:105], v157 offset0:55 offset1:118
	global_load_dwordx4 v[181:184], v66, s[8:9] offset:1248
	global_load_dwordx4 v[185:188], v66, s[8:9] offset:1264
	ds_read2_b64 v[189:192], v158 offset0:173 offset1:236
	v_cmp_lt_u32_e64 s[0:1], 17, v150
	s_waitcnt vmcnt(17) lgkmcnt(1)
	v_mul_f64 v[66:67], v[102:103], v[56:57]
	v_mul_f64 v[56:57], v[32:33], v[56:57]
	v_fma_f64 v[88:89], v[32:33], v[54:55], -v[66:67]
	s_waitcnt vmcnt(16)
	v_mul_f64 v[32:33], v[34:35], v[60:61]
	v_mul_f64 v[76:77], v[104:105], v[60:61]
	s_waitcnt vmcnt(15) lgkmcnt(0)
	v_mul_f64 v[60:61], v[189:190], v[64:65]
	v_fma_f64 v[100:101], v[102:103], v[54:55], v[56:57]
	ds_read2_b64 v[54:57], v157 offset0:181 offset1:244
	v_mul_f64 v[64:65], v[28:29], v[64:65]
	s_waitcnt vmcnt(14)
	v_mul_f64 v[66:67], v[191:192], v[74:75]
	v_fma_f64 v[108:109], v[104:105], v[58:59], v[32:33]
	s_waitcnt vmcnt(13) lgkmcnt(0)
	v_mul_f64 v[32:33], v[54:55], v[80:81]
	v_fma_f64 v[102:103], v[34:35], v[58:59], -v[76:77]
	v_mul_f64 v[34:35], v[30:31], v[74:75]
	v_fma_f64 v[106:107], v[28:29], v[62:63], -v[60:61]
	;; [unrolled: 2-line block ×3, first 2 shown]
	ds_read2_b64 v[28:31], v159 offset0:43 offset1:106
	v_fma_f64 v[76:77], v[189:190], v[62:63], v[64:65]
	v_fma_f64 v[104:105], v[24:25], v[78:79], -v[32:33]
	s_waitcnt vmcnt(12)
	v_mul_f64 v[60:61], v[56:57], v[84:85]
	v_fma_f64 v[74:75], v[191:192], v[72:73], v[34:35]
	s_waitcnt vmcnt(11) lgkmcnt(0)
	v_mul_f64 v[24:25], v[28:29], v[94:95]
	v_mul_f64 v[62:63], v[26:27], v[84:85]
	ds_read2_b64 v[32:35], v160 offset0:51 offset1:114
	v_fma_f64 v[110:111], v[54:55], v[78:79], v[58:59]
	v_mul_f64 v[54:55], v[20:21], v[94:95]
	s_waitcnt vmcnt(10)
	v_mul_f64 v[58:59], v[30:31], v[126:127]
	v_fma_f64 v[64:65], v[26:27], v[82:83], -v[60:61]
	v_fma_f64 v[80:81], v[20:21], v[92:93], -v[24:25]
	s_waitcnt vmcnt(9) lgkmcnt(0)
	v_mul_f64 v[20:21], v[32:33], v[135:136]
	v_fma_f64 v[78:79], v[56:57], v[82:83], v[62:63]
	v_mul_f64 v[62:63], v[22:23], v[126:127]
	ds_read2_b64 v[24:27], v159 offset0:169 offset1:232
	v_fma_f64 v[56:57], v[28:29], v[92:93], v[54:55]
	v_fma_f64 v[60:61], v[22:23], v[124:125], -v[58:59]
	v_mul_f64 v[54:55], v[16:17], v[135:136]
	s_waitcnt vmcnt(8)
	v_mul_f64 v[58:59], v[34:35], v[139:140]
	v_fma_f64 v[66:67], v[16:17], v[133:134], -v[20:21]
	s_waitcnt vmcnt(7) lgkmcnt(0)
	v_mul_f64 v[16:17], v[24:25], v[143:144]
	v_fma_f64 v[22:23], v[30:31], v[124:125], v[62:63]
	v_mul_f64 v[62:63], v[18:19], v[139:140]
	ds_read2_b64 v[28:31], v160 offset0:177 offset1:240
	ds_read2_b64 v[92:95], v118 offset0:39 offset1:102
	v_mul_f64 v[20:21], v[12:13], v[143:144]
	v_fma_f64 v[72:73], v[18:19], v[137:138], -v[58:59]
	v_fma_f64 v[86:87], v[32:33], v[133:134], v[54:55]
	s_waitcnt vmcnt(6) lgkmcnt(1)
	v_mul_f64 v[18:19], v[30:31], v[147:148]
	v_fma_f64 v[84:85], v[12:13], v[141:142], -v[16:17]
	s_waitcnt vmcnt(5) lgkmcnt(0)
	v_mul_f64 v[16:17], v[92:93], v[167:168]
	v_fma_f64 v[82:83], v[34:35], v[137:138], v[62:63]
	ds_read2_b64 v[32:35], v158 offset0:47 offset1:110
	v_fma_f64 v[62:63], v[24:25], v[141:142], v[20:21]
	s_waitcnt vmcnt(4)
	v_mul_f64 v[20:21], v[26:27], v[171:172]
	s_waitcnt vmcnt(3)
	v_mul_f64 v[54:55], v[28:29], v[175:176]
	v_fma_f64 v[12:13], v[10:11], v[145:146], -v[18:19]
	v_mul_f64 v[10:11], v[10:11], v[147:148]
	v_fma_f64 v[16:17], v[4:5], v[165:166], -v[16:17]
	v_mul_f64 v[4:5], v[4:5], v[167:168]
	s_waitcnt vmcnt(2) lgkmcnt(0)
	v_mul_f64 v[120:121], v[34:35], v[179:180]
	v_mul_f64 v[58:59], v[8:9], v[175:176]
	v_fma_f64 v[18:19], v[14:15], v[169:170], -v[20:21]
	v_fma_f64 v[20:21], v[8:9], v[173:174], -v[54:55]
	v_mul_f64 v[24:25], v[14:15], v[171:172]
	v_fma_f64 v[54:55], v[30:31], v[145:146], v[10:11]
	v_add_f64 v[8:9], v[12:13], v[16:17]
	v_fma_f64 v[118:119], v[92:93], v[165:166], v[4:5]
	v_mul_f64 v[4:5], v[2:3], v[179:180]
	v_fma_f64 v[140:141], v[2:3], v[177:178], -v[120:121]
	v_fma_f64 v[58:59], v[28:29], v[173:174], v[58:59]
	s_waitcnt vmcnt(1)
	v_mul_f64 v[2:3], v[32:33], v[183:184]
	v_mul_f64 v[10:11], v[0:1], v[183:184]
	v_fma_f64 v[14:15], v[26:27], v[169:170], v[24:25]
	v_fma_f64 v[8:9], v[8:9], -0.5, v[38:39]
	v_add_f64 v[28:29], v[54:55], -v[118:119]
	v_fma_f64 v[134:135], v[34:35], v[177:178], v[4:5]
	v_add_f64 v[4:5], v[88:89], v[140:141]
	s_waitcnt vmcnt(0)
	v_mul_f64 v[24:25], v[94:95], v[187:188]
	v_mul_f64 v[26:27], v[6:7], v[187:188]
	v_add_f64 v[30:31], v[52:53], v[88:89]
	v_fma_f64 v[124:125], v[0:1], v[181:182], -v[2:3]
	v_fma_f64 v[128:129], v[32:33], v[181:182], v[10:11]
	v_fma_f64 v[0:1], v[28:29], s[6:7], v[8:9]
	v_fma_f64 v[2:3], v[28:29], s[10:11], v[8:9]
	v_fma_f64 v[4:5], v[4:5], -0.5, v[52:53]
	v_add_f64 v[8:9], v[100:101], -v[134:135]
	v_add_f64 v[10:11], v[102:103], v[106:107]
	v_fma_f64 v[126:127], v[6:7], v[185:186], -v[24:25]
	v_fma_f64 v[120:121], v[94:95], v[185:186], v[26:27]
	v_add_f64 v[6:7], v[30:31], v[140:141]
	v_add_f64 v[26:27], v[108:109], -v[76:77]
	v_add_f64 v[28:29], v[104:105], v[90:91]
	ds_read_b64 v[138:139], v117
	ds_read_b64 v[136:137], v122
	;; [unrolled: 1-line block ×4, first 2 shown]
	v_fma_f64 v[24:25], v[8:9], s[6:7], v[4:5]
	v_fma_f64 v[4:5], v[8:9], s[10:11], v[4:5]
	v_fma_f64 v[8:9], v[10:11], -0.5, v[50:51]
	v_add_f64 v[10:11], v[50:51], v[102:103]
	ds_read_b64 v[132:133], v123
	ds_read_b64 v[148:149], v156
	;; [unrolled: 1-line block ×5, first 2 shown]
	s_waitcnt lgkmcnt(0)
	; wave barrier
	s_waitcnt lgkmcnt(0)
	ds_write2_b64 v156, v[6:7], v[24:25] offset1:81
	ds_write_b64 v156, v[4:5] offset:1296
	v_add_f64 v[24:25], v[48:49], v[104:105]
	v_fma_f64 v[6:7], v[26:27], s[6:7], v[8:9]
	v_add_f64 v[4:5], v[10:11], v[106:107]
	v_fma_f64 v[8:9], v[26:27], s[10:11], v[8:9]
	v_fma_f64 v[10:11], v[28:29], -0.5, v[48:49]
	v_add_f64 v[26:27], v[110:111], -v[74:75]
	v_add_f64 v[28:29], v[64:65], v[80:81]
	v_mov_b32_e32 v30, 0x798
	v_cndmask_b32_e64 v30, 0, v30, s[0:1]
	v_lshlrev_b32_e32 v31, 3, v68
	v_add3_u32 v165, 0, v30, v31
	ds_write2_b64 v165, v[4:5], v[6:7] offset1:81
	ds_write_b64 v165, v[8:9] offset:1296
	v_add_f64 v[4:5], v[24:25], v[90:91]
	v_fma_f64 v[6:7], v[26:27], s[6:7], v[10:11]
	v_fma_f64 v[8:9], v[26:27], s[10:11], v[10:11]
	v_fma_f64 v[10:11], v[28:29], -0.5, v[46:47]
	v_add_f64 v[24:25], v[46:47], v[64:65]
	v_add_f64 v[26:27], v[78:79], -v[56:57]
	v_add_f64 v[28:29], v[66:67], v[60:61]
	v_mul_u32_u24_e32 v30, 0x798, v69
	v_lshlrev_b32_sdwa v31, v164, v70 dst_sel:DWORD dst_unused:UNUSED_PAD src0_sel:DWORD src1_sel:BYTE_0
	v_add3_u32 v166, 0, v30, v31
	ds_write2_b64 v166, v[4:5], v[6:7] offset1:81
	ds_write_b64 v166, v[8:9] offset:1296
	v_add_f64 v[30:31], v[72:73], v[84:85]
	v_add_f64 v[4:5], v[24:25], v[80:81]
	v_fma_f64 v[6:7], v[26:27], s[6:7], v[10:11]
	v_fma_f64 v[8:9], v[28:29], -0.5, v[44:45]
	v_add_f64 v[24:25], v[44:45], v[66:67]
	v_add_f64 v[28:29], v[86:87], -v[22:23]
	v_lshlrev_b32_sdwa v32, v164, v193 dst_sel:DWORD dst_unused:UNUSED_PAD src0_sel:DWORD src1_sel:BYTE_0
	v_mul_u32_u24_e32 v33, 0x798, v71
	v_add3_u32 v164, 0, v33, v32
	v_fma_f64 v[10:11], v[26:27], s[10:11], v[10:11]
	ds_write2_b64 v164, v[4:5], v[6:7] offset1:81
	v_add_f64 v[26:27], v[42:43], v[72:73]
	v_add_f64 v[4:5], v[24:25], v[60:61]
	v_fma_f64 v[6:7], v[28:29], s[6:7], v[8:9]
	v_fma_f64 v[8:9], v[28:29], s[10:11], v[8:9]
	v_fma_f64 v[24:25], v[30:31], -0.5, v[42:43]
	v_add_f64 v[28:29], v[82:83], -v[62:63]
	v_lshl_add_u32 v167, v194, 3, 0
	v_add_u32_e32 v168, 0x1400, v167
	ds_write_b64 v164, v[10:11] offset:1296
	v_add_f64 v[10:11], v[20:21], v[18:19]
	ds_write2_b64 v168, v[4:5], v[6:7] offset0:89 offset1:170
	ds_write_b64 v167, v[8:9] offset:7128
	v_add_f64 v[4:5], v[26:27], v[84:85]
	v_mul_u32_u24_e32 v30, 0x798, v195
	v_fma_f64 v[6:7], v[28:29], s[6:7], v[24:25]
	v_fma_f64 v[8:9], v[28:29], s[10:11], v[24:25]
	v_lshlrev_b32_e32 v28, 3, v196
	v_add3_u32 v169, 0, v30, v28
	v_fma_f64 v[10:11], v[10:11], -0.5, v[40:41]
	v_add_f64 v[24:25], v[40:41], v[20:21]
	v_add_f64 v[26:27], v[58:59], -v[14:15]
	v_add_f64 v[28:29], v[128:129], -v[120:121]
	ds_write2_b64 v169, v[4:5], v[6:7] offset1:81
	v_add_f64 v[4:5], v[124:125], v[126:127]
	ds_write_b64 v169, v[8:9] offset:1296
	v_mul_u32_u24_e32 v30, 0x798, v197
	v_lshlrev_b32_e32 v31, 3, v200
	v_add_f64 v[6:7], v[24:25], v[18:19]
	v_fma_f64 v[8:9], v[26:27], s[6:7], v[10:11]
	v_fma_f64 v[10:11], v[26:27], s[10:11], v[10:11]
	v_add_f64 v[24:25], v[38:39], v[12:13]
	v_fma_f64 v[26:27], v[4:5], -0.5, v[36:37]
	v_add_f64 v[4:5], v[36:37], v[124:125]
	v_add3_u32 v170, 0, v30, v31
	ds_write2_b64 v170, v[6:7], v[8:9] offset1:81
	ds_write_b64 v170, v[10:11] offset:1296
	v_mul_u32_u24_e32 v10, 0x798, v198
	v_add_f64 v[116:117], v[24:25], v[16:17]
	v_fma_f64 v[6:7], v[28:29], s[6:7], v[26:27]
	v_add_f64 v[4:5], v[4:5], v[126:127]
	v_fma_f64 v[8:9], v[28:29], s[10:11], v[26:27]
	v_lshlrev_b32_e32 v11, 3, v199
	v_lshl_add_u32 v174, v201, 3, 0
	v_add3_u32 v171, 0, v10, v11
	v_add_u32_e32 v175, 0x2c00, v174
	v_sub_u32_e32 v10, 0, v98
	ds_write2_b64 v171, v[116:117], v[0:1] offset1:81
	ds_write_b64 v171, v[2:3] offset:1296
	ds_write2_b64 v175, v[4:5], v[6:7] offset0:50 offset1:131
	ds_write_b64 v174, v[8:9] offset:12960
	s_waitcnt lgkmcnt(0)
	; wave barrier
	s_waitcnt lgkmcnt(0)
	v_add_u32_e32 v177, 0xc00, v156
	v_add_u32_e32 v176, 0x1c00, v156
	;; [unrolled: 1-line block ×4, first 2 shown]
	ds_read_b64 v[48:49], v97
	ds_read_b64 v[122:123], v96
	ds_read_b64 v[50:51], v156 offset:12672
	ds_read2_b64 v[24:27], v156 offset1:243
	ds_read2_b64 v[40:43], v177 offset0:102 offset1:165
	ds_read2_b64 v[32:35], v157 offset0:100 offset1:217
	;; [unrolled: 1-line block ×8, first 2 shown]
	v_add_u32_e32 v161, v161, v10
	v_sub_u32_e32 v178, 0, v162
	v_sub_u32_e32 v162, 0, v163
	v_cmp_gt_u32_e64 s[0:1], 54, v150
	s_and_saveexec_b64 s[12:13], s[0:1]
	s_cbranch_execz .LBB0_15
; %bb.14:
	v_add_u32_e32 v0, 0xd80, v156
	v_add_u32_e32 v4, 0x1c80, v156
	v_add_u32_e32 v8, 0x2b80, v156
	ds_read_b64 v[116:117], v161
	ds_read2_b64 v[0:3], v0 offset1:243
	ds_read2_b64 v[4:7], v4 offset0:6 offset1:249
	ds_read2_b64 v[8:11], v8 offset0:12 offset1:255
.LBB0_15:
	s_or_b64 exec, exec, s[12:13]
	v_add_f64 v[179:180], v[100:101], v[134:135]
	v_add_f64 v[181:182], v[108:109], v[76:77]
	v_add_f64 v[88:89], v[88:89], -v[140:141]
	v_add_f64 v[108:109], v[146:147], v[108:109]
	v_add_f64 v[102:103], v[102:103], -v[106:107]
	v_add_f64 v[106:107], v[110:111], v[74:75]
	v_add_f64 v[110:111], v[144:145], v[110:111]
	v_add_f64 v[90:91], v[104:105], -v[90:91]
	v_fma_f64 v[140:141], v[179:180], -0.5, v[148:149]
	v_add_f64 v[104:105], v[78:79], v[56:57]
	v_add_f64 v[78:79], v[142:143], v[78:79]
	v_add_f64 v[76:77], v[108:109], v[76:77]
	v_add_f64 v[64:65], v[64:65], -v[80:81]
	v_add_f64 v[72:73], v[72:73], -v[84:85]
	v_add_f64 v[74:75], v[110:111], v[74:75]
	v_add_f64 v[110:111], v[86:87], v[22:23]
	v_fma_f64 v[108:109], v[88:89], s[10:11], v[140:141]
	v_fma_f64 v[88:89], v[88:89], s[6:7], v[140:141]
	v_add_f64 v[140:141], v[82:83], v[62:63]
	v_add_f64 v[86:87], v[138:139], v[86:87]
	v_fma_f64 v[104:105], v[104:105], -0.5, v[142:143]
	v_add_f64 v[56:57], v[78:79], v[56:57]
	v_add_f64 v[78:79], v[136:137], v[82:83]
	v_fma_f64 v[106:107], v[106:107], -0.5, v[144:145]
	v_add_f64 v[100:101], v[148:149], v[100:101]
	v_add_f64 v[60:61], v[66:67], -v[60:61]
	v_fma_f64 v[82:83], v[140:141], -0.5, v[136:137]
	v_add_f64 v[22:23], v[86:87], v[22:23]
	v_add_f64 v[86:87], v[58:59], v[14:15]
	v_fma_f64 v[66:67], v[64:65], s[10:11], v[104:105]
	v_fma_f64 v[64:65], v[64:65], s[6:7], v[104:105]
	v_add_f64 v[62:63], v[78:79], v[62:63]
	v_add_f64 v[78:79], v[54:55], v[118:119]
	v_fma_f64 v[146:147], v[181:182], -0.5, v[146:147]
	v_fma_f64 v[104:105], v[72:73], s[10:11], v[82:83]
	v_fma_f64 v[72:73], v[72:73], s[6:7], v[82:83]
	v_add_f64 v[82:83], v[128:129], v[120:121]
	v_fma_f64 v[80:81], v[90:91], s[10:11], v[106:107]
	v_fma_f64 v[90:91], v[90:91], s[6:7], v[106:107]
	v_fma_f64 v[106:107], v[110:111], -0.5, v[138:139]
	v_fma_f64 v[86:87], v[86:87], -0.5, v[130:131]
	v_add_f64 v[18:19], v[20:21], -v[18:19]
	v_add_f64 v[100:101], v[100:101], v[134:135]
	v_add_f64 v[58:59], v[130:131], v[58:59]
	;; [unrolled: 1-line block ×3, first 2 shown]
	v_fma_f64 v[52:53], v[78:79], -0.5, v[52:53]
	v_add_f64 v[12:13], v[12:13], -v[16:17]
	v_add_f64 v[54:55], v[132:133], v[128:129]
	v_fma_f64 v[78:79], v[82:83], -0.5, v[132:133]
	v_add_f64 v[82:83], v[124:125], -v[126:127]
	v_fma_f64 v[134:135], v[102:103], s[10:11], v[146:147]
	v_fma_f64 v[102:103], v[102:103], s[6:7], v[146:147]
	;; [unrolled: 1-line block ×6, first 2 shown]
	v_add_f64 v[58:59], v[58:59], v[14:15]
	v_add_f64 v[118:119], v[20:21], v[118:119]
	v_fma_f64 v[16:17], v[12:13], s[10:11], v[52:53]
	v_fma_f64 v[18:19], v[12:13], s[6:7], v[52:53]
	v_add_f64 v[12:13], v[54:55], v[120:121]
	v_fma_f64 v[14:15], v[82:83], s[10:11], v[78:79]
	v_fma_f64 v[20:21], v[82:83], s[6:7], v[78:79]
	s_waitcnt lgkmcnt(0)
	; wave barrier
	s_waitcnt lgkmcnt(0)
	ds_write2_b64 v156, v[100:101], v[108:109] offset1:81
	ds_write_b64 v156, v[88:89] offset:1296
	ds_write2_b64 v165, v[76:77], v[134:135] offset1:81
	ds_write_b64 v165, v[102:103] offset:1296
	;; [unrolled: 2-line block ×4, first 2 shown]
	ds_write2_b64 v168, v[22:23], v[84:85] offset0:89 offset1:170
	ds_write_b64 v167, v[60:61] offset:7128
	ds_write2_b64 v169, v[62:63], v[104:105] offset1:81
	ds_write_b64 v169, v[72:73] offset:1296
	ds_write2_b64 v170, v[58:59], v[106:107] offset1:81
	;; [unrolled: 2-line block ×3, first 2 shown]
	ds_write_b64 v171, v[18:19] offset:1296
	ds_write2_b64 v175, v[12:13], v[14:15] offset0:50 offset1:131
	ds_write_b64 v174, v[20:21] offset:12960
	s_waitcnt lgkmcnt(0)
	; wave barrier
	s_waitcnt lgkmcnt(0)
	ds_read2_b64 v[64:67], v156 offset1:243
	ds_read2_b64 v[80:83], v177 offset0:102 offset1:165
	ds_read2_b64 v[72:75], v157 offset0:100 offset1:217
	;; [unrolled: 1-line block ×5, first 2 shown]
	v_add_u32_e32 v23, v155, v162
	v_add_u32_e32 v22, v154, v178
	ds_read2_b64 v[108:111], v173 offset0:50 offset1:113
	ds_read2_b64 v[100:103], v160 offset0:24 offset1:87
	;; [unrolled: 1-line block ×3, first 2 shown]
	ds_read_b64 v[52:53], v23
	ds_read_b64 v[124:125], v22
	ds_read_b64 v[54:55], v156 offset:12672
	s_and_saveexec_b64 s[6:7], s[0:1]
	s_cbranch_execz .LBB0_17
; %bb.16:
	v_add_u32_e32 v12, 0xd80, v156
	ds_read2_b64 v[16:19], v12 offset1:243
	v_add_u32_e32 v12, 0x1c80, v156
	v_add_u32_e32 v20, 0x2b80, v156
	ds_read_b64 v[118:119], v161
	ds_read2_b64 v[12:15], v12 offset0:6 offset1:249
	ds_read2_b64 v[20:23], v20 offset0:12 offset1:255
.LBB0_17:
	s_or_b64 exec, exec, s[6:7]
	s_and_saveexec_b64 s[6:7], vcc
	s_cbranch_execz .LBB0_20
; %bb.18:
	v_mul_i32_i24_e32 v120, 6, v153
	v_mov_b32_e32 v121, 0
	v_lshlrev_b64 v[56:57], 4, v[120:121]
	v_mov_b32_e32 v144, s9
	v_add_co_u32_e32 v138, vcc, s8, v56
	v_addc_co_u32_e32 v139, vcc, v144, v57, vcc
	global_load_dwordx4 v[56:59], v[138:139], off offset:3840
	global_load_dwordx4 v[60:63], v[138:139], off offset:3920
	;; [unrolled: 1-line block ×5, first 2 shown]
	s_nop 0
	global_load_dwordx4 v[138:141], v[138:139], off offset:3904
	v_mul_i32_i24_e32 v120, 6, v152
	v_lshlrev_b64 v[142:143], 4, v[120:121]
	s_mov_b32 s10, 0xe976ee23
	v_add_co_u32_e32 v160, vcc, s8, v142
	v_addc_co_u32_e32 v161, vcc, v144, v143, vcc
	global_load_dwordx4 v[142:145], v[160:161], off offset:3888
	global_load_dwordx4 v[146:149], v[160:161], off offset:3872
	;; [unrolled: 1-line block ×4, first 2 shown]
	s_mov_b32 s18, 0x37e14327
	s_mov_b32 s16, 0x36b3c0b5
	;; [unrolled: 1-line block ×17, first 2 shown]
	v_mul_lo_u32 v174, s5, v114
	v_mul_lo_u32 v175, s4, v115
	v_mad_u64_u32 v[114:115], s[4:5], s4, v114, 0
	s_mov_b32 s4, 0x37c3f68c
	s_mov_b32 s5, 0x3fdc38aa
	v_add3_u32 v115, v115, v175, v174
	s_mov_b32 s29, 0x86d90545
	s_movk_i32 s28, 0xf3
	s_waitcnt vmcnt(9) lgkmcnt(5)
	v_mul_f64 v[162:163], v[110:111], v[58:59]
	s_waitcnt vmcnt(8) lgkmcnt(0)
	v_mul_f64 v[164:165], v[54:55], v[62:63]
	s_waitcnt vmcnt(7)
	v_mul_f64 v[166:167], v[84:85], v[128:129]
	s_waitcnt vmcnt(6)
	v_mul_f64 v[168:169], v[102:103], v[132:133]
	s_waitcnt vmcnt(5)
	v_mul_f64 v[170:171], v[72:73], v[136:137]
	v_mul_f64 v[62:63], v[50:51], v[62:63]
	;; [unrolled: 1-line block ×6, first 2 shown]
	v_fma_f64 v[98:99], v[98:99], v[56:57], -v[162:163]
	v_fma_f64 v[50:51], v[50:51], v[60:61], -v[164:165]
	;; [unrolled: 1-line block ×4, first 2 shown]
	v_fma_f64 v[54:55], v[54:55], v[60:61], v[62:63]
	v_fma_f64 v[60:61], v[72:73], v[134:135], v[136:137]
	;; [unrolled: 1-line block ×3, first 2 shown]
	global_load_dwordx4 v[70:73], v[160:161], off offset:3920
	global_load_dwordx4 v[126:129], v[160:161], off offset:3904
	s_waitcnt vmcnt(6)
	v_mul_f64 v[172:173], v[106:107], v[140:141]
	v_mul_f64 v[140:141], v[94:95], v[140:141]
	v_fma_f64 v[32:33], v[32:33], v[134:135], -v[170:171]
	v_fma_f64 v[56:57], v[110:111], v[56:57], v[58:59]
	v_fma_f64 v[62:63], v[102:103], v[130:131], v[132:133]
	v_add_f64 v[102:103], v[98:99], -v[50:51]
	v_add_f64 v[50:51], v[98:99], v[50:51]
	v_fma_f64 v[94:95], v[94:95], v[138:139], -v[172:173]
	v_fma_f64 v[58:59], v[106:107], v[138:139], v[140:141]
	v_add_f64 v[106:107], v[44:45], -v[162:163]
	v_add_f64 v[130:131], v[56:57], v[54:55]
	v_add_f64 v[134:135], v[84:85], v[62:63]
	;; [unrolled: 1-line block ×3, first 2 shown]
	v_add_f64 v[54:55], v[56:57], -v[54:55]
	v_add_f64 v[56:57], v[84:85], -v[62:63]
	;; [unrolled: 1-line block ×3, first 2 shown]
	v_add_f64 v[32:33], v[32:33], v[94:95]
	v_add_f64 v[132:133], v[60:61], v[58:59]
	v_add_f64 v[58:59], v[60:61], -v[58:59]
	v_add_f64 v[98:99], v[130:131], -v[134:135]
	;; [unrolled: 1-line block ×6, first 2 shown]
	v_add_f64 v[136:137], v[50:51], v[32:33]
	v_add_f64 v[94:95], v[130:131], v[132:133]
	v_add_f64 v[62:63], v[106:107], v[110:111]
	v_add_f64 v[140:141], v[44:45], -v[32:33]
	v_add_f64 v[162:163], v[56:57], -v[58:59]
	v_add_f64 v[56:57], v[56:57], v[58:59]
	v_add_f64 v[110:111], v[110:111], -v[102:103]
	v_add_f64 v[106:107], v[134:135], -v[132:133]
	v_add_f64 v[44:45], v[44:45], v[136:137]
	v_add_f64 v[94:95], v[134:135], v[94:95]
	v_add_f64 v[130:131], v[132:133], -v[130:131]
	v_add_f64 v[32:33], v[32:33], -v[50:51]
	;; [unrolled: 1-line block ×3, first 2 shown]
	v_mul_f64 v[58:59], v[60:61], s[10:11]
	v_mul_f64 v[132:133], v[98:99], s[18:19]
	;; [unrolled: 1-line block ×4, first 2 shown]
	v_add_f64 v[54:55], v[54:55], v[56:57]
	v_mul_f64 v[56:57], v[110:111], s[20:21]
	v_add_f64 v[60:61], v[48:49], v[44:45]
	v_add_f64 v[102:103], v[102:103], v[62:63]
	v_mul_f64 v[106:107], v[106:107], s[16:17]
	v_mul_f64 v[140:141], v[162:163], s[10:11]
	v_add_f64 v[62:63], v[52:53], v[94:95]
	v_mul_f64 v[162:163], v[50:51], s[20:21]
	v_fma_f64 v[164:165], v[84:85], s[6:7], v[58:59]
	v_fma_f64 v[48:49], v[138:139], s[18:19], v[136:137]
	v_fma_f64 v[56:57], v[84:85], s[22:23], -v[56:57]
	v_fma_f64 v[84:85], v[130:131], s[24:25], -v[132:133]
	;; [unrolled: 1-line block ×4, first 2 shown]
	v_fma_f64 v[44:45], v[44:45], s[12:13], v[60:61]
	v_fma_f64 v[52:53], v[98:99], s[18:19], v[106:107]
	;; [unrolled: 1-line block ×3, first 2 shown]
	v_fma_f64 v[106:107], v[130:131], s[26:27], -v[106:107]
	v_fma_f64 v[58:59], v[110:111], s[20:21], -v[58:59]
	v_fma_f64 v[94:95], v[94:95], s[12:13], v[62:63]
	v_fma_f64 v[134:135], v[160:161], s[22:23], -v[162:163]
	v_fma_f64 v[110:111], v[102:103], s[4:5], v[164:165]
	v_add_f64 v[162:163], v[48:49], v[44:45]
	v_add_f64 v[164:165], v[132:133], v[44:45]
	;; [unrolled: 1-line block ×3, first 2 shown]
	s_waitcnt vmcnt(2)
	v_mul_f64 v[32:33], v[108:109], v[158:159]
	v_fma_f64 v[136:137], v[54:55], s[4:5], v[98:99]
	v_fma_f64 v[98:99], v[102:103], s[4:5], v[56:57]
	;; [unrolled: 1-line block ×3, first 2 shown]
	v_add_f64 v[160:161], v[52:53], v[94:95]
	v_add_f64 v[84:85], v[84:85], v[94:95]
	;; [unrolled: 1-line block ×3, first 2 shown]
	v_mul_f64 v[94:95], v[78:79], v[144:145]
	v_mul_f64 v[102:103], v[100:101], v[148:149]
	v_fma_f64 v[168:169], v[96:97], v[156:157], -v[32:33]
	v_mul_f64 v[106:107], v[82:83], v[154:155]
	s_waitcnt vmcnt(1)
	v_mul_f64 v[132:133], v[38:39], v[72:73]
	s_waitcnt vmcnt(0)
	v_mul_f64 v[130:131], v[104:105], v[128:129]
	v_mul_f64 v[32:33], v[90:91], v[72:73]
	;; [unrolled: 1-line block ×3, first 2 shown]
	v_fma_f64 v[72:73], v[30:31], v[142:143], -v[94:95]
	v_fma_f64 v[170:171], v[68:69], v[146:147], -v[102:103]
	v_mul_f64 v[102:103], v[92:93], v[128:129]
	v_fma_f64 v[172:173], v[42:43], v[152:153], -v[106:107]
	v_fma_f64 v[176:177], v[90:91], v[70:71], v[132:133]
	v_mul_u32_u24_e32 v90, 6, v150
	v_lshlrev_b32_e32 v120, 4, v90
	v_fma_f64 v[174:175], v[92:93], v[126:127], -v[130:131]
	global_load_dwordx4 v[90:93], v120, s[8:9] offset:3856
	global_load_dwordx4 v[94:97], v120, s[8:9] offset:3840
	v_fma_f64 v[156:157], v[108:109], v[156:157], v[158:159]
	v_mul_f64 v[42:43], v[42:43], v[154:155]
	v_fma_f64 v[154:155], v[104:105], v[126:127], v[102:103]
	global_load_dwordx4 v[102:105], v120, s[8:9] offset:3920
	global_load_dwordx4 v[106:109], v120, s[8:9] offset:3888
	;; [unrolled: 1-line block ×4, first 2 shown]
	v_fma_f64 v[50:51], v[50:51], s[20:21], -v[140:141]
	v_fma_f64 v[38:39], v[38:39], v[70:71], -v[32:33]
	v_mul_f64 v[32:33], v[68:69], v[148:149]
	v_mul_f64 v[30:31], v[30:31], v[144:145]
	v_fma_f64 v[82:83], v[82:83], v[152:153], v[42:43]
	v_add_f64 v[68:69], v[156:157], v[176:177]
	v_fma_f64 v[134:135], v[54:55], s[4:5], v[134:135]
	v_add_f64 v[70:71], v[72:73], -v[170:171]
	v_fma_f64 v[140:141], v[54:55], s[4:5], v[50:51]
	v_add_f64 v[54:55], v[98:99], v[84:85]
	v_fma_f64 v[100:101], v[100:101], v[146:147], v[32:33]
	v_fma_f64 v[78:79], v[78:79], v[142:143], v[30:31]
	v_add_f64 v[144:145], v[82:83], v[154:155]
	v_add_f64 v[142:143], v[168:169], v[38:39]
	;; [unrolled: 1-line block ×5, first 2 shown]
	v_add_f64 v[30:31], v[44:45], -v[140:141]
	v_add_f64 v[44:45], v[84:85], -v[98:99]
	v_add_f64 v[98:99], v[78:79], v[100:101]
	v_add_f64 v[84:85], v[68:69], v[144:145]
	v_add_f64 v[152:153], v[172:173], -v[174:175]
	v_add_f64 v[140:141], v[142:143], v[146:147]
	v_add_f64 v[38:39], v[168:169], -v[38:39]
	v_add_f64 v[78:79], v[78:79], -v[100:101]
	v_add_f64 v[82:83], v[82:83], -v[154:155]
	v_add_f64 v[154:155], v[72:73], -v[146:147]
	v_add_f64 v[156:157], v[156:157], -v[176:177]
	v_add_f64 v[84:85], v[98:99], v[84:85]
	v_add_f64 v[52:53], v[164:165], -v[134:135]
	v_add_f64 v[140:141], v[72:73], v[140:141]
	v_add_f64 v[58:59], v[166:167], -v[138:139]
	;; [unrolled: 2-line block ×4, first 2 shown]
	v_add_f64 v[148:149], v[98:99], -v[144:145]
	v_add_f64 v[70:71], v[70:71], v[152:153]
	v_add_f64 v[158:159], v[78:79], -v[82:83]
	v_add_f64 v[100:101], v[124:125], v[84:85]
	;; [unrolled: 2-line block ×3, first 2 shown]
	v_mul_f64 v[122:123], v[154:155], s[16:17]
	v_add_f64 v[154:155], v[156:157], -v[78:79]
	v_add_f64 v[78:79], v[78:79], v[82:83]
	v_mul_f64 v[138:139], v[138:139], s[10:11]
	v_mul_f64 v[148:149], v[148:149], s[16:17]
	v_add_f64 v[72:73], v[142:143], -v[72:73]
	v_add_f64 v[166:167], v[38:39], v[70:71]
	v_add_f64 v[38:39], v[152:153], -v[38:39]
	v_mul_f64 v[158:159], v[158:159], s[10:11]
	v_fma_f64 v[168:169], v[84:85], s[12:13], v[100:101]
	v_add_f64 v[78:79], v[156:157], v[78:79]
	v_add_f64 v[156:157], v[82:83], -v[156:157]
	v_fma_f64 v[164:165], v[134:135], s[6:7], v[138:139]
	v_fma_f64 v[70:71], v[124:125], s[18:19], v[148:149]
	;; [unrolled: 1-line block ×3, first 2 shown]
	v_mul_f64 v[124:125], v[124:125], s[18:19]
	v_mul_f64 v[72:73], v[72:73], s[18:19]
	;; [unrolled: 1-line block ×3, first 2 shown]
	v_add_f64 v[144:145], v[144:145], -v[68:69]
	v_add_f64 v[142:143], v[146:147], -v[142:143]
	v_mul_f64 v[146:147], v[156:157], s[20:21]
	v_fma_f64 v[38:39], v[38:39], s[20:21], -v[138:139]
	v_add_f64 v[50:51], v[110:111], v[160:161]
	v_add_f64 v[48:49], v[162:163], -v[136:137]
	v_fma_f64 v[170:171], v[154:155], s[6:7], v[158:159]
	v_fma_f64 v[152:153], v[166:167], s[4:5], v[164:165]
	v_add_f64 v[164:165], v[70:71], v[168:169]
	v_add_f64 v[70:71], v[160:161], -v[110:111]
	v_add_f64 v[68:69], v[136:137], v[162:163]
	v_fma_f64 v[110:111], v[134:135], s[22:23], -v[82:83]
	v_fma_f64 v[124:125], v[144:145], s[24:25], -v[124:125]
	;; [unrolled: 1-line block ×3, first 2 shown]
	s_waitcnt vmcnt(4)
	v_mul_f64 v[138:139], v[66:67], v[96:97]
	v_fma_f64 v[134:135], v[154:155], s[22:23], -v[146:147]
	v_fma_f64 v[136:137], v[144:145], s[26:27], -v[148:149]
	v_fma_f64 v[122:123], v[142:143], s[26:27], -v[122:123]
	s_waitcnt vmcnt(3)
	v_mul_f64 v[142:143], v[88:89], v[104:105]
	s_waitcnt vmcnt(2)
	v_mul_f64 v[144:145], v[76:77], v[108:109]
	;; [unrolled: 2-line block ×3, first 2 shown]
	v_mul_f64 v[148:149], v[80:81], v[92:93]
	v_fma_f64 v[138:139], v[26:27], v[94:95], -v[138:139]
	s_waitcnt vmcnt(0)
	v_mul_f64 v[154:155], v[86:87], v[132:133]
	v_mul_f64 v[104:105], v[36:37], v[104:105]
	;; [unrolled: 1-line block ×5, first 2 shown]
	v_fma_f64 v[140:141], v[140:141], s[12:13], v[98:99]
	v_fma_f64 v[132:133], v[28:29], v[106:107], -v[144:145]
	v_fma_f64 v[144:145], v[34:35], v[126:127], -v[146:147]
	;; [unrolled: 1-line block ×4, first 2 shown]
	v_fma_f64 v[88:89], v[88:89], v[102:103], v[104:105]
	v_fma_f64 v[94:95], v[66:67], v[94:95], v[26:27]
	;; [unrolled: 1-line block ×4, first 2 shown]
	v_mul_f64 v[26:27], v[34:35], v[128:129]
	v_mul_f64 v[28:29], v[28:29], v[108:109]
	v_add_f64 v[172:173], v[84:85], v[140:141]
	v_add_f64 v[72:73], v[72:73], v[140:141]
	;; [unrolled: 1-line block ×3, first 2 shown]
	v_fma_f64 v[38:39], v[166:167], s[4:5], v[38:39]
	v_add_f64 v[122:123], v[122:123], v[140:141]
	v_fma_f64 v[140:141], v[156:157], s[20:21], -v[158:159]
	v_fma_f64 v[66:67], v[36:37], v[102:103], -v[142:143]
	v_add_f64 v[90:91], v[132:133], -v[144:145]
	v_add_f64 v[92:93], v[146:147], -v[46:47]
	v_add_f64 v[96:97], v[94:95], v[88:89]
	v_add_f64 v[102:103], v[80:81], v[86:87]
	v_fma_f64 v[104:105], v[74:75], v[126:127], v[26:27]
	v_fma_f64 v[76:77], v[76:77], v[106:107], v[28:29]
	;; [unrolled: 1-line block ×4, first 2 shown]
	v_add_f64 v[124:125], v[124:125], v[168:169]
	v_fma_f64 v[134:135], v[78:79], s[4:5], v[134:135]
	v_fma_f64 v[78:79], v[78:79], s[4:5], v[140:141]
	v_add_f64 v[106:107], v[138:139], -v[66:67]
	v_add_f64 v[74:75], v[90:91], -v[92:93]
	;; [unrolled: 1-line block ×3, first 2 shown]
	v_add_f64 v[108:109], v[96:97], v[102:103]
	v_add_f64 v[126:127], v[76:77], v[104:105]
	;; [unrolled: 1-line block ×7, first 2 shown]
	v_add_f64 v[128:129], v[106:107], -v[90:91]
	v_mul_f64 v[130:131], v[74:75], s[10:11]
	v_add_f64 v[38:39], v[122:123], -v[78:79]
	v_add_f64 v[66:67], v[90:91], v[92:93]
	v_add_f64 v[90:91], v[126:127], v[108:109]
	v_add_f64 v[74:75], v[124:125], -v[110:111]
	v_add_f64 v[78:79], v[126:127], -v[102:103]
	v_add_f64 v[110:111], v[136:137], v[46:47]
	v_add_f64 v[122:123], v[132:133], v[144:145]
	v_fma_f64 v[108:109], v[128:129], s[6:7], v[130:131]
	v_add_f64 v[76:77], v[76:77], -v[104:105]
	v_add_f64 v[124:125], v[106:107], v[66:67]
	v_add_f64 v[66:67], v[64:65], v[90:91]
	v_add_f64 v[80:81], v[80:81], -v[86:87]
	v_add_f64 v[64:65], v[96:97], -v[126:127]
	v_mul_f64 v[86:87], v[78:79], s[16:17]
	v_add_f64 v[104:105], v[122:123], v[110:111]
	v_add_f64 v[88:89], v[94:95], -v[88:89]
	v_add_f64 v[92:93], v[92:93], -v[106:107]
	v_fma_f64 v[110:111], v[124:125], s[4:5], v[108:109]
	v_add_f64 v[108:109], v[122:123], -v[46:47]
	v_add_f64 v[94:95], v[76:77], -v[80:81]
	v_mul_f64 v[132:133], v[64:65], s[18:19]
	v_fma_f64 v[126:127], v[64:65], s[18:19], v[86:87]
	v_add_f64 v[64:65], v[24:25], v[104:105]
	v_add_f64 v[24:25], v[136:137], -v[122:123]
	v_add_f64 v[122:123], v[88:89], -v[76:77]
	v_add_f64 v[76:77], v[76:77], v[80:81]
	v_add_f64 v[80:81], v[80:81], -v[88:89]
	v_mul_f64 v[138:139], v[92:93], s[20:21]
	v_add_f64 v[96:97], v[102:103], -v[96:97]
	v_mul_f64 v[94:95], v[94:95], s[10:11]
	;; [unrolled: 2-line block ×3, first 2 shown]
	v_mul_f64 v[106:107], v[24:25], s[18:19]
	v_fma_f64 v[90:91], v[90:91], s[12:13], v[66:67]
	v_mul_f64 v[136:137], v[80:81], s[20:21]
	v_fma_f64 v[128:129], v[128:129], s[22:23], -v[138:139]
	v_fma_f64 v[132:133], v[96:97], s[24:25], -v[132:133]
	;; [unrolled: 1-line block ×3, first 2 shown]
	v_add_f64 v[26:27], v[72:73], -v[134:135]
	v_add_f64 v[72:73], v[134:135], v[72:73]
	v_fma_f64 v[134:135], v[122:123], s[6:7], v[94:95]
	v_add_f64 v[102:103], v[88:89], v[76:77]
	v_fma_f64 v[122:123], v[122:123], s[22:23], -v[136:137]
	v_fma_f64 v[80:81], v[80:81], s[20:21], -v[94:95]
	v_fma_f64 v[104:105], v[104:105], s[12:13], v[64:65]
	v_fma_f64 v[106:107], v[46:47], s[24:25], -v[106:107]
	v_fma_f64 v[46:47], v[46:47], s[26:27], -v[108:109]
	v_add_f64 v[126:127], v[126:127], v[90:91]
	v_fma_f64 v[24:25], v[24:25], s[18:19], v[108:109]
	v_fma_f64 v[92:93], v[92:93], s[20:21], -v[130:131]
	v_fma_f64 v[108:109], v[124:125], s[4:5], v[128:129]
	v_add_f64 v[128:129], v[132:133], v[90:91]
	v_add_f64 v[130:131], v[86:87], v[90:91]
	v_mul_hi_u32 v90, v150, s29
	v_fma_f64 v[134:135], v[102:103], s[4:5], v[134:135]
	v_fma_f64 v[122:123], v[102:103], s[4:5], v[122:123]
	;; [unrolled: 1-line block ×3, first 2 shown]
	v_lshrrev_b32_e32 v90, 7, v90
	v_mul_lo_u32 v102, v90, s28
	v_add_f64 v[46:47], v[46:47], v[104:105]
	v_add_f64 v[24:25], v[24:25], v[104:105]
	;; [unrolled: 1-line block ×3, first 2 shown]
	v_sub_u32_e32 v120, v150, v102
	v_mad_u64_u32 v[132:133], s[30:31], s2, v120, 0
	v_fma_f64 v[124:125], v[124:125], s[4:5], v[92:93]
	v_add_f64 v[88:89], v[110:111], v[126:127]
	v_add_f64 v[94:95], v[80:81], v[46:47]
	v_add_f64 v[102:103], v[46:47], -v[80:81]
	v_mov_b32_e32 v46, v133
	v_mad_u64_u32 v[46:47], s[30:31], s3, v120, v[46:47]
	v_add_f64 v[86:87], v[24:25], -v[134:135]
	v_add_f64 v[90:91], v[106:107], -v[122:123]
	v_add_f64 v[106:107], v[122:123], v[106:107]
	v_add_f64 v[122:123], v[134:135], v[24:25]
	v_lshlrev_b64 v[24:25], 4, v[114:115]
	v_mov_b32_e32 v133, v46
	v_mov_b32_e32 v46, s15
	v_add_co_u32_e32 v80, vcc, s14, v24
	v_addc_co_u32_e32 v81, vcc, v46, v25, vcc
	v_lshlrev_b64 v[24:25], 4, v[112:113]
	v_add_f64 v[96:97], v[130:131], -v[124:125]
	v_add_co_u32_e32 v24, vcc, v80, v24
	v_add_f64 v[104:105], v[124:125], v[130:131]
	v_add_f64 v[124:125], v[126:127], -v[110:111]
	v_add_u32_e32 v110, 0xf3, v120
	v_addc_co_u32_e32 v25, vcc, v81, v25, vcc
	v_lshlrev_b64 v[80:81], 4, v[132:133]
	v_mad_u64_u32 v[46:47], s[14:15], s2, v110, 0
	v_add_co_u32_e32 v80, vcc, v24, v80
	v_addc_co_u32_e32 v81, vcc, v25, v81, vcc
	global_store_dwordx4 v[80:81], v[64:67], off
	v_mad_u64_u32 v[110:111], s[14:15], s3, v110, v[47:48]
	v_add_u32_e32 v66, 0x1e6, v120
	v_mad_u64_u32 v[64:65], s[14:15], s2, v66, 0
	v_mov_b32_e32 v47, v110
	v_add_u32_e32 v80, 0x2d9, v120
	v_mad_u64_u32 v[65:66], s[14:15], s3, v66, v[65:66]
	v_lshlrev_b64 v[46:47], 4, v[46:47]
	v_mad_u64_u32 v[66:67], s[14:15], s2, v80, 0
	v_add_f64 v[92:93], v[108:109], v[128:129]
	v_add_f64 v[108:109], v[128:129], -v[108:109]
	v_add_co_u32_e32 v46, vcc, v24, v46
	v_addc_co_u32_e32 v47, vcc, v25, v47, vcc
	global_store_dwordx4 v[46:47], v[122:125], off
	v_lshlrev_b64 v[46:47], 4, v[64:65]
	v_mov_b32_e32 v64, v67
	v_mad_u64_u32 v[64:65], s[14:15], s3, v80, v[64:65]
	v_add_co_u32_e32 v46, vcc, v24, v46
	v_addc_co_u32_e32 v47, vcc, v25, v47, vcc
	v_mov_b32_e32 v67, v64
	global_store_dwordx4 v[46:47], v[106:109], off
	v_lshlrev_b64 v[46:47], 4, v[66:67]
	v_add_u32_e32 v66, 0x3cc, v120
	v_mad_u64_u32 v[64:65], s[14:15], s2, v66, 0
	v_add_u32_e32 v80, 0x4bf, v120
	v_add_co_u32_e32 v46, vcc, v24, v46
	v_mad_u64_u32 v[65:66], s[14:15], s3, v66, v[65:66]
	v_mad_u64_u32 v[66:67], s[14:15], s2, v80, 0
	v_addc_co_u32_e32 v47, vcc, v25, v47, vcc
	global_store_dwordx4 v[46:47], v[102:105], off
	v_lshlrev_b64 v[46:47], 4, v[64:65]
	v_mov_b32_e32 v64, v67
	v_mad_u64_u32 v[64:65], s[14:15], s3, v80, v[64:65]
	v_add_co_u32_e32 v46, vcc, v24, v46
	v_addc_co_u32_e32 v47, vcc, v25, v47, vcc
	v_mov_b32_e32 v67, v64
	global_store_dwordx4 v[46:47], v[94:97], off
	v_lshlrev_b64 v[46:47], 4, v[66:67]
	v_add_u32_e32 v67, 63, v150
	v_mul_hi_u32 v80, v67, s29
	v_add_u32_e32 v66, 0x5b2, v120
	v_mad_u64_u32 v[64:65], s[14:15], s2, v66, 0
	v_lshrrev_b32_e32 v80, 7, v80
	v_add_co_u32_e32 v46, vcc, v24, v46
	v_mul_lo_u32 v81, v80, s28
	v_addc_co_u32_e32 v47, vcc, v25, v47, vcc
	global_store_dwordx4 v[46:47], v[90:93], off
	v_mov_b32_e32 v46, v65
	v_mad_u64_u32 v[46:47], s[14:15], s3, v66, v[46:47]
	v_sub_u32_e32 v47, v67, v81
	s_movk_i32 s30, 0x6a5
	v_mad_u64_u32 v[66:67], s[14:15], v80, s30, v[47:48]
	v_mov_b32_e32 v65, v46
	v_lshlrev_b64 v[46:47], 4, v[64:65]
	v_mad_u64_u32 v[64:65], s[14:15], s2, v66, 0
	v_add_u32_e32 v67, 0xf3, v66
	v_mad_u64_u32 v[90:91], s[14:15], s2, v67, 0
	v_mad_u64_u32 v[80:81], s[14:15], s3, v66, v[65:66]
	v_add_co_u32_e32 v46, vcc, v24, v46
	v_addc_co_u32_e32 v47, vcc, v25, v47, vcc
	v_mov_b32_e32 v65, v80
	global_store_dwordx4 v[46:47], v[86:89], off
	v_lshlrev_b64 v[46:47], 4, v[64:65]
	v_mov_b32_e32 v64, v91
	v_mad_u64_u32 v[64:65], s[14:15], s3, v67, v[64:65]
	v_add_u32_e32 v67, 0x1e6, v66
	v_add_f64 v[78:79], v[164:165], -v[152:153]
	v_mov_b32_e32 v91, v64
	v_mad_u64_u32 v[64:65], s[14:15], s2, v67, 0
	v_add_f64 v[76:77], v[170:171], v[172:173]
	v_add_co_u32_e32 v46, vcc, v24, v46
	v_addc_co_u32_e32 v47, vcc, v25, v47, vcc
	v_mad_u64_u32 v[80:81], s[14:15], s3, v67, v[65:66]
	v_add_u32_e32 v67, 0x2d9, v66
	global_store_dwordx4 v[46:47], v[98:101], off
	v_lshlrev_b64 v[46:47], 4, v[90:91]
	v_mad_u64_u32 v[86:87], s[14:15], s2, v67, 0
	v_add_co_u32_e32 v46, vcc, v24, v46
	v_addc_co_u32_e32 v47, vcc, v25, v47, vcc
	v_mov_b32_e32 v65, v80
	global_store_dwordx4 v[46:47], v[76:79], off
	v_lshlrev_b64 v[46:47], 4, v[64:65]
	v_mov_b32_e32 v64, v87
	v_mad_u64_u32 v[64:65], s[14:15], s3, v67, v[64:65]
	v_add_u32_e32 v67, 0x3cc, v66
	v_add_co_u32_e32 v46, vcc, v24, v46
	v_mov_b32_e32 v87, v64
	v_mad_u64_u32 v[64:65], s[14:15], s2, v67, 0
	v_addc_co_u32_e32 v47, vcc, v25, v47, vcc
	global_store_dwordx4 v[46:47], v[72:75], off
	v_lshlrev_b64 v[46:47], 4, v[86:87]
	v_mad_u64_u32 v[72:73], s[14:15], s3, v67, v[65:66]
	v_add_co_u32_e32 v46, vcc, v24, v46
	v_addc_co_u32_e32 v47, vcc, v25, v47, vcc
	v_mov_b32_e32 v65, v72
	global_store_dwordx4 v[46:47], v[38:41], off
	v_add_u32_e32 v67, 0x4bf, v66
	v_lshlrev_b64 v[38:39], 4, v[64:65]
	v_mad_u64_u32 v[73:74], s[14:15], s2, v67, 0
	v_add_co_u32_e32 v38, vcc, v24, v38
	v_addc_co_u32_e32 v39, vcc, v25, v39, vcc
	global_store_dwordx4 v[38:39], v[34:37], off
	v_add_u32_e32 v38, 0x7e, v150
	v_mul_hi_u32 v39, v38, s29
	v_mov_b32_e32 v40, v74
	v_mad_u64_u32 v[40:41], s[14:15], s3, v67, v[40:41]
	v_lshrrev_b32_e32 v39, 7, v39
	v_mul_lo_u32 v41, v39, s28
	v_mov_b32_e32 v74, v40
	v_add_u32_e32 v40, 0x5b2, v66
	v_mad_u64_u32 v[36:37], s[14:15], s2, v40, 0
	v_sub_u32_e32 v38, v38, v41
	v_mad_u64_u32 v[38:39], s[14:15], v39, s30, v[38:39]
	v_lshlrev_b64 v[34:35], 4, v[73:74]
	v_add_f64 v[84:85], v[152:153], v[164:165]
	v_mad_u64_u32 v[39:40], s[14:15], s3, v40, v[37:38]
	v_mad_u64_u32 v[40:41], s[14:15], s2, v38, 0
	v_add_co_u32_e32 v34, vcc, v24, v34
	v_addc_co_u32_e32 v35, vcc, v25, v35, vcc
	global_store_dwordx4 v[34:35], v[26:29], off
	v_add_f64 v[82:83], v[172:173], -v[170:171]
	v_mov_b32_e32 v28, v41
	v_mad_u64_u32 v[28:29], s[14:15], s3, v38, v[28:29]
	v_add_u32_e32 v34, 0xf3, v38
	v_mov_b32_e32 v37, v39
	v_mov_b32_e32 v41, v28
	v_mad_u64_u32 v[28:29], s[14:15], s2, v34, 0
	v_lshlrev_b64 v[26:27], 4, v[36:37]
	v_add_u32_e32 v37, 0x1e6, v38
	v_add_co_u32_e32 v26, vcc, v24, v26
	v_addc_co_u32_e32 v27, vcc, v25, v27, vcc
	v_mad_u64_u32 v[34:35], s[14:15], s3, v34, v[29:30]
	global_store_dwordx4 v[26:27], v[82:85], off
	v_lshlrev_b64 v[26:27], 4, v[40:41]
	v_mad_u64_u32 v[35:36], s[14:15], s2, v37, 0
	v_add_co_u32_e32 v26, vcc, v24, v26
	v_addc_co_u32_e32 v27, vcc, v25, v27, vcc
	v_mov_b32_e32 v29, v34
	global_store_dwordx4 v[26:27], v[60:63], off
	v_lshlrev_b64 v[26:27], 4, v[28:29]
	v_mov_b32_e32 v28, v36
	v_mad_u64_u32 v[28:29], s[14:15], s3, v37, v[28:29]
	v_add_u32_e32 v34, 0x2d9, v38
	v_add_co_u32_e32 v26, vcc, v24, v26
	v_mov_b32_e32 v36, v28
	v_mad_u64_u32 v[28:29], s[14:15], s2, v34, 0
	v_addc_co_u32_e32 v27, vcc, v25, v27, vcc
	global_store_dwordx4 v[26:27], v[68:71], off
	v_lshlrev_b64 v[26:27], 4, v[35:36]
	v_mad_u64_u32 v[34:35], s[14:15], s3, v34, v[29:30]
	v_add_u32_e32 v37, 0x3cc, v38
	v_mad_u64_u32 v[35:36], s[14:15], s2, v37, 0
	v_add_co_u32_e32 v26, vcc, v24, v26
	v_addc_co_u32_e32 v27, vcc, v25, v27, vcc
	v_mov_b32_e32 v29, v34
	global_store_dwordx4 v[26:27], v[42:45], off
	v_lshlrev_b64 v[26:27], 4, v[28:29]
	v_mov_b32_e32 v28, v36
	v_mad_u64_u32 v[28:29], s[14:15], s3, v37, v[28:29]
	v_add_co_u32_e32 v26, vcc, v24, v26
	v_addc_co_u32_e32 v27, vcc, v25, v27, vcc
	global_store_dwordx4 v[26:27], v[30:33], off
	v_mov_b32_e32 v36, v28
	v_add_u32_e32 v30, 0x4bf, v38
	v_mad_u64_u32 v[28:29], s[14:15], s2, v30, 0
	v_add_u32_e32 v32, 0x5b2, v38
	v_lshlrev_b64 v[26:27], 4, v[35:36]
	v_mad_u64_u32 v[29:30], s[14:15], s3, v30, v[29:30]
	v_mad_u64_u32 v[30:31], s[14:15], s2, v32, 0
	v_add_co_u32_e32 v26, vcc, v24, v26
	v_addc_co_u32_e32 v27, vcc, v25, v27, vcc
	global_store_dwordx4 v[26:27], v[56:59], off
	v_lshlrev_b64 v[26:27], 4, v[28:29]
	v_mov_b32_e32 v28, v31
	v_mad_u64_u32 v[28:29], s[14:15], s3, v32, v[28:29]
	v_add_co_u32_e32 v26, vcc, v24, v26
	v_addc_co_u32_e32 v27, vcc, v25, v27, vcc
	v_mov_b32_e32 v31, v28
	global_store_dwordx4 v[26:27], v[52:55], off
	v_lshlrev_b64 v[26:27], 4, v[30:31]
	v_add_co_u32_e32 v26, vcc, v24, v26
	v_addc_co_u32_e32 v27, vcc, v25, v27, vcc
	global_store_dwordx4 v[26:27], v[48:51], off
	v_add_u32_e32 v26, 0xbd, v150
	v_cmp_gt_u32_e32 vcc, s28, v26
	s_and_b64 exec, exec, vcc
	s_cbranch_execz .LBB0_20
; %bb.19:
	v_subrev_u32_e32 v27, 54, v150
	v_cndmask_b32_e64 v27, v27, v151, s[0:1]
	v_mul_i32_i24_e32 v120, 6, v27
	v_lshlrev_b64 v[27:28], 4, v[120:121]
	v_mov_b32_e32 v29, s9
	v_add_co_u32_e32 v51, vcc, s8, v27
	v_addc_co_u32_e32 v52, vcc, v29, v28, vcc
	global_load_dwordx4 v[27:30], v[51:52], off offset:3840
	global_load_dwordx4 v[31:34], v[51:52], off offset:3856
	global_load_dwordx4 v[35:38], v[51:52], off offset:3872
	global_load_dwordx4 v[39:42], v[51:52], off offset:3888
	global_load_dwordx4 v[43:46], v[51:52], off offset:3920
	global_load_dwordx4 v[47:50], v[51:52], off offset:3904
	v_add_u32_e32 v61, 0x1b0, v150
	v_mad_u64_u32 v[51:52], s[0:1], s2, v26, 0
	v_add_u32_e32 v62, 0x2a3, v150
	v_mad_u64_u32 v[53:54], s[0:1], s2, v61, 0
	v_mad_u64_u32 v[55:56], s[0:1], s2, v62, 0
	;; [unrolled: 1-line block ×3, first 2 shown]
	v_mov_b32_e32 v26, v54
	v_mov_b32_e32 v52, v56
	v_add_u32_e32 v71, 0x396, v150
	v_mad_u64_u32 v[57:58], s[0:1], s2, v71, 0
	s_waitcnt vmcnt(5)
	v_mad_u64_u32 v[60:61], s[0:1], s3, v61, v[26:27]
	v_mad_u64_u32 v[61:62], s[0:1], s3, v62, v[52:53]
	v_mov_b32_e32 v52, v59
	v_mov_b32_e32 v54, v60
	v_mov_b32_e32 v56, v61
	v_mul_f64 v[59:60], v[16:17], v[29:30]
	v_mul_f64 v[29:30], v[0:1], v[29:30]
	s_waitcnt vmcnt(4)
	v_mul_f64 v[61:62], v[18:19], v[33:34]
	v_mul_f64 v[33:34], v[2:3], v[33:34]
	s_waitcnt vmcnt(1)
	;; [unrolled: 3-line block ×3, first 2 shown]
	v_mul_f64 v[69:70], v[20:21], v[49:50]
	v_mul_f64 v[49:50], v[8:9], v[49:50]
	v_mul_f64 v[63:64], v[12:13], v[37:38]
	v_mul_f64 v[37:38], v[4:5], v[37:38]
	v_mul_f64 v[65:66], v[14:15], v[41:42]
	v_mul_f64 v[41:42], v[6:7], v[41:42]
	v_fma_f64 v[0:1], v[0:1], v[27:28], -v[59:60]
	v_fma_f64 v[16:17], v[16:17], v[27:28], v[29:30]
	v_fma_f64 v[2:3], v[2:3], v[31:32], -v[61:62]
	v_fma_f64 v[18:19], v[18:19], v[31:32], v[33:34]
	;; [unrolled: 2-line block ×6, first 2 shown]
	v_add_f64 v[26:27], v[0:1], v[10:11]
	v_add_f64 v[28:29], v[16:17], v[22:23]
	v_add_f64 v[0:1], v[0:1], -v[10:11]
	v_add_f64 v[10:11], v[16:17], -v[22:23]
	v_add_f64 v[16:17], v[2:3], v[8:9]
	v_add_f64 v[22:23], v[18:19], v[20:21]
	v_add_f64 v[2:3], v[2:3], -v[8:9]
	v_add_f64 v[8:9], v[18:19], -v[20:21]
	;; [unrolled: 4-line block ×4, first 2 shown]
	v_add_f64 v[26:27], v[26:27], -v[18:19]
	v_add_f64 v[28:29], v[28:29], -v[20:21]
	;; [unrolled: 1-line block ×4, first 2 shown]
	v_add_f64 v[34:35], v[4:5], v[2:3]
	v_add_f64 v[36:37], v[6:7], v[8:9]
	v_add_f64 v[38:39], v[4:5], -v[2:3]
	v_add_f64 v[40:41], v[6:7], -v[8:9]
	v_add_f64 v[12:13], v[18:19], v[12:13]
	v_add_f64 v[14:15], v[20:21], v[14:15]
	v_add_f64 v[42:43], v[2:3], -v[0:1]
	v_add_f64 v[8:9], v[8:9], -v[10:11]
	;; [unrolled: 1-line block ×4, first 2 shown]
	v_add_f64 v[18:19], v[34:35], v[0:1]
	v_add_f64 v[10:11], v[36:37], v[10:11]
	v_mul_f64 v[20:21], v[26:27], s[18:19]
	v_mul_f64 v[26:27], v[28:29], s[18:19]
	v_mul_f64 v[28:29], v[16:17], s[16:17]
	v_mul_f64 v[34:35], v[22:23], s[16:17]
	v_mul_f64 v[36:37], v[38:39], s[10:11]
	v_mul_f64 v[38:39], v[40:41], s[10:11]
	v_add_f64 v[0:1], v[116:117], v[12:13]
	v_add_f64 v[2:3], v[118:119], v[14:15]
	v_mul_f64 v[40:41], v[42:43], s[20:21]
	v_mul_f64 v[44:45], v[8:9], s[20:21]
	v_fma_f64 v[16:17], v[16:17], s[16:17], v[20:21]
	v_fma_f64 v[22:23], v[22:23], s[16:17], v[26:27]
	v_fma_f64 v[28:29], v[30:31], s[26:27], -v[28:29]
	v_fma_f64 v[34:35], v[32:33], s[26:27], -v[34:35]
	v_fma_f64 v[20:21], v[30:31], s[24:25], -v[20:21]
	v_fma_f64 v[26:27], v[32:33], s[24:25], -v[26:27]
	v_fma_f64 v[30:31], v[4:5], s[6:7], v[36:37]
	v_fma_f64 v[32:33], v[6:7], s[6:7], v[38:39]
	;; [unrolled: 1-line block ×4, first 2 shown]
	v_fma_f64 v[36:37], v[42:43], s[20:21], -v[36:37]
	v_fma_f64 v[4:5], v[4:5], s[22:23], -v[40:41]
	;; [unrolled: 1-line block ×4, first 2 shown]
	v_fma_f64 v[30:31], v[18:19], s[4:5], v[30:31]
	v_fma_f64 v[32:33], v[10:11], s[4:5], v[32:33]
	v_add_f64 v[42:43], v[16:17], v[12:13]
	v_add_f64 v[22:23], v[22:23], v[14:15]
	v_lshlrev_b64 v[51:52], 4, v[51:52]
	v_fma_f64 v[36:37], v[18:19], s[4:5], v[36:37]
	v_add_co_u32_e32 v51, vcc, v24, v51
	v_addc_co_u32_e32 v52, vcc, v25, v52, vcc
	v_fma_f64 v[18:19], v[18:19], s[4:5], v[4:5]
	v_fma_f64 v[40:41], v[10:11], s[4:5], v[6:7]
	v_add_f64 v[20:21], v[20:21], v[12:13]
	v_add_f64 v[26:27], v[26:27], v[14:15]
	global_store_dwordx4 v[51:52], v[0:3], off
	v_fma_f64 v[38:39], v[10:11], s[4:5], v[8:9]
	v_add_f64 v[0:1], v[32:33], v[42:43]
	v_add_f64 v[2:3], v[22:23], -v[30:31]
	v_add_f64 v[16:17], v[28:29], v[12:13]
	v_add_f64 v[28:29], v[34:35], v[14:15]
	v_lshlrev_b64 v[53:54], 4, v[53:54]
	v_add_f64 v[4:5], v[40:41], v[20:21]
	v_add_co_u32_e32 v53, vcc, v24, v53
	v_addc_co_u32_e32 v54, vcc, v25, v54, vcc
	v_add_f64 v[6:7], v[26:27], -v[18:19]
	global_store_dwordx4 v[53:54], v[0:3], off
	v_add_f64 v[18:19], v[18:19], v[26:27]
	v_mov_b32_e32 v0, v58
	v_mad_u64_u32 v[0:1], s[0:1], s3, v71, v[0:1]
	v_add_u32_e32 v26, 0x489, v150
	v_mad_u64_u32 v[1:2], s[0:1], s2, v26, 0
	v_lshlrev_b64 v[55:56], 4, v[55:56]
	v_add_f64 v[8:9], v[16:17], -v[38:39]
	v_add_f64 v[10:11], v[36:37], v[28:29]
	v_add_co_u32_e32 v34, vcc, v24, v55
	v_addc_co_u32_e32 v35, vcc, v25, v56, vcc
	v_mov_b32_e32 v58, v0
	v_mov_b32_e32 v0, v2
	global_store_dwordx4 v[34:35], v[4:7], off
	v_add_f64 v[12:13], v[38:39], v[16:17]
	v_lshlrev_b64 v[3:4], 4, v[57:58]
	v_mad_u64_u32 v[5:6], s[0:1], s3, v26, v[0:1]
	v_add_co_u32_e32 v2, vcc, v24, v3
	v_addc_co_u32_e32 v3, vcc, v25, v4, vcc
	global_store_dwordx4 v[2:3], v[8:11], off
	v_mov_b32_e32 v2, v5
	v_add_u32_e32 v4, 0x57c, v150
	v_lshlrev_b64 v[0:1], 4, v[1:2]
	v_mad_u64_u32 v[2:3], s[0:1], s2, v4, 0
	v_add_f64 v[14:15], v[28:29], -v[36:37]
	v_add_u32_e32 v6, 0x66f, v150
	v_mad_u64_u32 v[3:4], s[0:1], s3, v4, v[3:4]
	v_mad_u64_u32 v[4:5], s[0:1], s2, v6, 0
	v_add_f64 v[16:17], v[20:21], -v[40:41]
	v_add_co_u32_e32 v0, vcc, v24, v0
	v_addc_co_u32_e32 v1, vcc, v25, v1, vcc
	global_store_dwordx4 v[0:1], v[12:15], off
	v_lshlrev_b64 v[0:1], 4, v[2:3]
	v_mov_b32_e32 v2, v5
	v_mad_u64_u32 v[2:3], s[0:1], s3, v6, v[2:3]
	v_add_f64 v[20:21], v[42:43], -v[32:33]
	v_add_f64 v[22:23], v[30:31], v[22:23]
	v_add_co_u32_e32 v0, vcc, v24, v0
	v_addc_co_u32_e32 v1, vcc, v25, v1, vcc
	v_mov_b32_e32 v5, v2
	global_store_dwordx4 v[0:1], v[16:19], off
	v_lshlrev_b64 v[0:1], 4, v[4:5]
	v_add_co_u32_e32 v0, vcc, v24, v0
	v_addc_co_u32_e32 v1, vcc, v25, v1, vcc
	global_store_dwordx4 v[0:1], v[20:23], off
.LBB0_20:
	s_endpgm
	.section	.rodata,"a",@progbits
	.p2align	6, 0x0
	.amdhsa_kernel fft_rtc_fwd_len1701_factors_3_3_3_3_3_7_wgs_63_tpt_63_halfLds_dp_op_CI_CI_sbrr_dirReg
		.amdhsa_group_segment_fixed_size 0
		.amdhsa_private_segment_fixed_size 0
		.amdhsa_kernarg_size 104
		.amdhsa_user_sgpr_count 6
		.amdhsa_user_sgpr_private_segment_buffer 1
		.amdhsa_user_sgpr_dispatch_ptr 0
		.amdhsa_user_sgpr_queue_ptr 0
		.amdhsa_user_sgpr_kernarg_segment_ptr 1
		.amdhsa_user_sgpr_dispatch_id 0
		.amdhsa_user_sgpr_flat_scratch_init 0
		.amdhsa_user_sgpr_private_segment_size 0
		.amdhsa_uses_dynamic_stack 0
		.amdhsa_system_sgpr_private_segment_wavefront_offset 0
		.amdhsa_system_sgpr_workgroup_id_x 1
		.amdhsa_system_sgpr_workgroup_id_y 0
		.amdhsa_system_sgpr_workgroup_id_z 0
		.amdhsa_system_sgpr_workgroup_info 0
		.amdhsa_system_vgpr_workitem_id 0
		.amdhsa_next_free_vgpr 204
		.amdhsa_next_free_sgpr 32
		.amdhsa_reserve_vcc 1
		.amdhsa_reserve_flat_scratch 0
		.amdhsa_float_round_mode_32 0
		.amdhsa_float_round_mode_16_64 0
		.amdhsa_float_denorm_mode_32 3
		.amdhsa_float_denorm_mode_16_64 3
		.amdhsa_dx10_clamp 1
		.amdhsa_ieee_mode 1
		.amdhsa_fp16_overflow 0
		.amdhsa_exception_fp_ieee_invalid_op 0
		.amdhsa_exception_fp_denorm_src 0
		.amdhsa_exception_fp_ieee_div_zero 0
		.amdhsa_exception_fp_ieee_overflow 0
		.amdhsa_exception_fp_ieee_underflow 0
		.amdhsa_exception_fp_ieee_inexact 0
		.amdhsa_exception_int_div_zero 0
	.end_amdhsa_kernel
	.text
.Lfunc_end0:
	.size	fft_rtc_fwd_len1701_factors_3_3_3_3_3_7_wgs_63_tpt_63_halfLds_dp_op_CI_CI_sbrr_dirReg, .Lfunc_end0-fft_rtc_fwd_len1701_factors_3_3_3_3_3_7_wgs_63_tpt_63_halfLds_dp_op_CI_CI_sbrr_dirReg
                                        ; -- End function
	.section	.AMDGPU.csdata,"",@progbits
; Kernel info:
; codeLenInByte = 22040
; NumSgprs: 36
; NumVgprs: 204
; ScratchSize: 0
; MemoryBound: 1
; FloatMode: 240
; IeeeMode: 1
; LDSByteSize: 0 bytes/workgroup (compile time only)
; SGPRBlocks: 4
; VGPRBlocks: 50
; NumSGPRsForWavesPerEU: 36
; NumVGPRsForWavesPerEU: 204
; Occupancy: 1
; WaveLimiterHint : 1
; COMPUTE_PGM_RSRC2:SCRATCH_EN: 0
; COMPUTE_PGM_RSRC2:USER_SGPR: 6
; COMPUTE_PGM_RSRC2:TRAP_HANDLER: 0
; COMPUTE_PGM_RSRC2:TGID_X_EN: 1
; COMPUTE_PGM_RSRC2:TGID_Y_EN: 0
; COMPUTE_PGM_RSRC2:TGID_Z_EN: 0
; COMPUTE_PGM_RSRC2:TIDIG_COMP_CNT: 0
	.type	__hip_cuid_e61a8f539988a491,@object ; @__hip_cuid_e61a8f539988a491
	.section	.bss,"aw",@nobits
	.globl	__hip_cuid_e61a8f539988a491
__hip_cuid_e61a8f539988a491:
	.byte	0                               ; 0x0
	.size	__hip_cuid_e61a8f539988a491, 1

	.ident	"AMD clang version 19.0.0git (https://github.com/RadeonOpenCompute/llvm-project roc-6.4.0 25133 c7fe45cf4b819c5991fe208aaa96edf142730f1d)"
	.section	".note.GNU-stack","",@progbits
	.addrsig
	.addrsig_sym __hip_cuid_e61a8f539988a491
	.amdgpu_metadata
---
amdhsa.kernels:
  - .args:
      - .actual_access:  read_only
        .address_space:  global
        .offset:         0
        .size:           8
        .value_kind:     global_buffer
      - .offset:         8
        .size:           8
        .value_kind:     by_value
      - .actual_access:  read_only
        .address_space:  global
        .offset:         16
        .size:           8
        .value_kind:     global_buffer
      - .actual_access:  read_only
        .address_space:  global
        .offset:         24
        .size:           8
        .value_kind:     global_buffer
      - .actual_access:  read_only
        .address_space:  global
        .offset:         32
        .size:           8
        .value_kind:     global_buffer
      - .offset:         40
        .size:           8
        .value_kind:     by_value
      - .actual_access:  read_only
        .address_space:  global
        .offset:         48
        .size:           8
        .value_kind:     global_buffer
      - .actual_access:  read_only
        .address_space:  global
        .offset:         56
        .size:           8
        .value_kind:     global_buffer
      - .offset:         64
        .size:           4
        .value_kind:     by_value
      - .actual_access:  read_only
        .address_space:  global
        .offset:         72
        .size:           8
        .value_kind:     global_buffer
      - .actual_access:  read_only
        .address_space:  global
        .offset:         80
        .size:           8
        .value_kind:     global_buffer
      - .actual_access:  read_only
        .address_space:  global
        .offset:         88
        .size:           8
        .value_kind:     global_buffer
      - .actual_access:  write_only
        .address_space:  global
        .offset:         96
        .size:           8
        .value_kind:     global_buffer
    .group_segment_fixed_size: 0
    .kernarg_segment_align: 8
    .kernarg_segment_size: 104
    .language:       OpenCL C
    .language_version:
      - 2
      - 0
    .max_flat_workgroup_size: 63
    .name:           fft_rtc_fwd_len1701_factors_3_3_3_3_3_7_wgs_63_tpt_63_halfLds_dp_op_CI_CI_sbrr_dirReg
    .private_segment_fixed_size: 0
    .sgpr_count:     36
    .sgpr_spill_count: 0
    .symbol:         fft_rtc_fwd_len1701_factors_3_3_3_3_3_7_wgs_63_tpt_63_halfLds_dp_op_CI_CI_sbrr_dirReg.kd
    .uniform_work_group_size: 1
    .uses_dynamic_stack: false
    .vgpr_count:     204
    .vgpr_spill_count: 0
    .wavefront_size: 64
amdhsa.target:   amdgcn-amd-amdhsa--gfx906
amdhsa.version:
  - 1
  - 2
...

	.end_amdgpu_metadata
